;; amdgpu-corpus repo=ROCm/rocFFT kind=compiled arch=gfx906 opt=O3
	.text
	.amdgcn_target "amdgcn-amd-amdhsa--gfx906"
	.amdhsa_code_object_version 6
	.protected	fft_rtc_fwd_len1404_factors_2_2_3_13_3_3_wgs_117_tpt_117_halfLds_dp_ip_CI_unitstride_sbrr_R2C_dirReg ; -- Begin function fft_rtc_fwd_len1404_factors_2_2_3_13_3_3_wgs_117_tpt_117_halfLds_dp_ip_CI_unitstride_sbrr_R2C_dirReg
	.globl	fft_rtc_fwd_len1404_factors_2_2_3_13_3_3_wgs_117_tpt_117_halfLds_dp_ip_CI_unitstride_sbrr_R2C_dirReg
	.p2align	8
	.type	fft_rtc_fwd_len1404_factors_2_2_3_13_3_3_wgs_117_tpt_117_halfLds_dp_ip_CI_unitstride_sbrr_R2C_dirReg,@function
fft_rtc_fwd_len1404_factors_2_2_3_13_3_3_wgs_117_tpt_117_halfLds_dp_ip_CI_unitstride_sbrr_R2C_dirReg: ; @fft_rtc_fwd_len1404_factors_2_2_3_13_3_3_wgs_117_tpt_117_halfLds_dp_ip_CI_unitstride_sbrr_R2C_dirReg
; %bb.0:
	s_load_dwordx2 s[2:3], s[4:5], 0x50
	s_load_dwordx4 s[8:11], s[4:5], 0x0
	s_load_dwordx2 s[12:13], s[4:5], 0x18
	v_mul_u32_u24_e32 v1, 0x231, v0
	v_add_u32_sdwa v5, s6, v1 dst_sel:DWORD dst_unused:UNUSED_PAD src0_sel:DWORD src1_sel:WORD_1
	v_mov_b32_e32 v3, 0
	s_waitcnt lgkmcnt(0)
	v_cmp_lt_u64_e64 s[0:1], s[10:11], 2
	v_mov_b32_e32 v1, 0
	v_mov_b32_e32 v6, v3
	s_and_b64 vcc, exec, s[0:1]
	v_mov_b32_e32 v2, 0
	s_cbranch_vccnz .LBB0_8
; %bb.1:
	s_load_dwordx2 s[0:1], s[4:5], 0x10
	s_add_u32 s6, s12, 8
	s_addc_u32 s7, s13, 0
	v_mov_b32_e32 v1, 0
	v_mov_b32_e32 v2, 0
	s_waitcnt lgkmcnt(0)
	s_add_u32 s14, s0, 8
	s_addc_u32 s15, s1, 0
	s_mov_b64 s[16:17], 1
.LBB0_2:                                ; =>This Inner Loop Header: Depth=1
	s_load_dwordx2 s[18:19], s[14:15], 0x0
                                        ; implicit-def: $vgpr7_vgpr8
	s_waitcnt lgkmcnt(0)
	v_or_b32_e32 v4, s19, v6
	v_cmp_ne_u64_e32 vcc, 0, v[3:4]
	s_and_saveexec_b64 s[0:1], vcc
	s_xor_b64 s[20:21], exec, s[0:1]
	s_cbranch_execz .LBB0_4
; %bb.3:                                ;   in Loop: Header=BB0_2 Depth=1
	v_cvt_f32_u32_e32 v4, s18
	v_cvt_f32_u32_e32 v7, s19
	s_sub_u32 s0, 0, s18
	s_subb_u32 s1, 0, s19
	v_mac_f32_e32 v4, 0x4f800000, v7
	v_rcp_f32_e32 v4, v4
	v_mul_f32_e32 v4, 0x5f7ffffc, v4
	v_mul_f32_e32 v7, 0x2f800000, v4
	v_trunc_f32_e32 v7, v7
	v_mac_f32_e32 v4, 0xcf800000, v7
	v_cvt_u32_f32_e32 v7, v7
	v_cvt_u32_f32_e32 v4, v4
	v_mul_lo_u32 v8, s0, v7
	v_mul_hi_u32 v9, s0, v4
	v_mul_lo_u32 v11, s1, v4
	v_mul_lo_u32 v10, s0, v4
	v_add_u32_e32 v8, v9, v8
	v_add_u32_e32 v8, v8, v11
	v_mul_hi_u32 v9, v4, v10
	v_mul_lo_u32 v11, v4, v8
	v_mul_hi_u32 v13, v4, v8
	v_mul_hi_u32 v12, v7, v10
	v_mul_lo_u32 v10, v7, v10
	v_mul_hi_u32 v14, v7, v8
	v_add_co_u32_e32 v9, vcc, v9, v11
	v_addc_co_u32_e32 v11, vcc, 0, v13, vcc
	v_mul_lo_u32 v8, v7, v8
	v_add_co_u32_e32 v9, vcc, v9, v10
	v_addc_co_u32_e32 v9, vcc, v11, v12, vcc
	v_addc_co_u32_e32 v10, vcc, 0, v14, vcc
	v_add_co_u32_e32 v8, vcc, v9, v8
	v_addc_co_u32_e32 v9, vcc, 0, v10, vcc
	v_add_co_u32_e32 v4, vcc, v4, v8
	v_addc_co_u32_e32 v7, vcc, v7, v9, vcc
	v_mul_lo_u32 v8, s0, v7
	v_mul_hi_u32 v9, s0, v4
	v_mul_lo_u32 v10, s1, v4
	v_mul_lo_u32 v11, s0, v4
	v_add_u32_e32 v8, v9, v8
	v_add_u32_e32 v8, v8, v10
	v_mul_lo_u32 v12, v4, v8
	v_mul_hi_u32 v13, v4, v11
	v_mul_hi_u32 v14, v4, v8
	;; [unrolled: 1-line block ×3, first 2 shown]
	v_mul_lo_u32 v11, v7, v11
	v_mul_hi_u32 v9, v7, v8
	v_add_co_u32_e32 v12, vcc, v13, v12
	v_addc_co_u32_e32 v13, vcc, 0, v14, vcc
	v_mul_lo_u32 v8, v7, v8
	v_add_co_u32_e32 v11, vcc, v12, v11
	v_addc_co_u32_e32 v10, vcc, v13, v10, vcc
	v_addc_co_u32_e32 v9, vcc, 0, v9, vcc
	v_add_co_u32_e32 v8, vcc, v10, v8
	v_addc_co_u32_e32 v9, vcc, 0, v9, vcc
	v_add_co_u32_e32 v4, vcc, v4, v8
	v_addc_co_u32_e32 v9, vcc, v7, v9, vcc
	v_mad_u64_u32 v[7:8], s[0:1], v5, v9, 0
	v_mul_hi_u32 v10, v5, v4
	v_add_co_u32_e32 v11, vcc, v10, v7
	v_addc_co_u32_e32 v12, vcc, 0, v8, vcc
	v_mad_u64_u32 v[7:8], s[0:1], v6, v4, 0
	v_mad_u64_u32 v[9:10], s[0:1], v6, v9, 0
	v_add_co_u32_e32 v4, vcc, v11, v7
	v_addc_co_u32_e32 v4, vcc, v12, v8, vcc
	v_addc_co_u32_e32 v7, vcc, 0, v10, vcc
	v_add_co_u32_e32 v4, vcc, v4, v9
	v_addc_co_u32_e32 v9, vcc, 0, v7, vcc
	v_mul_lo_u32 v10, s19, v4
	v_mul_lo_u32 v11, s18, v9
	v_mad_u64_u32 v[7:8], s[0:1], s18, v4, 0
	v_add3_u32 v8, v8, v11, v10
	v_sub_u32_e32 v10, v6, v8
	v_mov_b32_e32 v11, s19
	v_sub_co_u32_e32 v7, vcc, v5, v7
	v_subb_co_u32_e64 v10, s[0:1], v10, v11, vcc
	v_subrev_co_u32_e64 v11, s[0:1], s18, v7
	v_subbrev_co_u32_e64 v10, s[0:1], 0, v10, s[0:1]
	v_cmp_le_u32_e64 s[0:1], s19, v10
	v_cndmask_b32_e64 v12, 0, -1, s[0:1]
	v_cmp_le_u32_e64 s[0:1], s18, v11
	v_cndmask_b32_e64 v11, 0, -1, s[0:1]
	v_cmp_eq_u32_e64 s[0:1], s19, v10
	v_cndmask_b32_e64 v10, v12, v11, s[0:1]
	v_add_co_u32_e64 v11, s[0:1], 2, v4
	v_addc_co_u32_e64 v12, s[0:1], 0, v9, s[0:1]
	v_add_co_u32_e64 v13, s[0:1], 1, v4
	v_addc_co_u32_e64 v14, s[0:1], 0, v9, s[0:1]
	v_subb_co_u32_e32 v8, vcc, v6, v8, vcc
	v_cmp_ne_u32_e64 s[0:1], 0, v10
	v_cmp_le_u32_e32 vcc, s19, v8
	v_cndmask_b32_e64 v10, v14, v12, s[0:1]
	v_cndmask_b32_e64 v12, 0, -1, vcc
	v_cmp_le_u32_e32 vcc, s18, v7
	v_cndmask_b32_e64 v7, 0, -1, vcc
	v_cmp_eq_u32_e32 vcc, s19, v8
	v_cndmask_b32_e32 v7, v12, v7, vcc
	v_cmp_ne_u32_e32 vcc, 0, v7
	v_cndmask_b32_e64 v7, v13, v11, s[0:1]
	v_cndmask_b32_e32 v8, v9, v10, vcc
	v_cndmask_b32_e32 v7, v4, v7, vcc
.LBB0_4:                                ;   in Loop: Header=BB0_2 Depth=1
	s_andn2_saveexec_b64 s[0:1], s[20:21]
	s_cbranch_execz .LBB0_6
; %bb.5:                                ;   in Loop: Header=BB0_2 Depth=1
	v_cvt_f32_u32_e32 v4, s18
	s_sub_i32 s20, 0, s18
	v_rcp_iflag_f32_e32 v4, v4
	v_mul_f32_e32 v4, 0x4f7ffffe, v4
	v_cvt_u32_f32_e32 v4, v4
	v_mul_lo_u32 v7, s20, v4
	v_mul_hi_u32 v7, v4, v7
	v_add_u32_e32 v4, v4, v7
	v_mul_hi_u32 v4, v5, v4
	v_mul_lo_u32 v7, v4, s18
	v_add_u32_e32 v8, 1, v4
	v_sub_u32_e32 v7, v5, v7
	v_subrev_u32_e32 v9, s18, v7
	v_cmp_le_u32_e32 vcc, s18, v7
	v_cndmask_b32_e32 v7, v7, v9, vcc
	v_cndmask_b32_e32 v4, v4, v8, vcc
	v_add_u32_e32 v8, 1, v4
	v_cmp_le_u32_e32 vcc, s18, v7
	v_cndmask_b32_e32 v7, v4, v8, vcc
	v_mov_b32_e32 v8, v3
.LBB0_6:                                ;   in Loop: Header=BB0_2 Depth=1
	s_or_b64 exec, exec, s[0:1]
	v_mul_lo_u32 v4, v8, s18
	v_mul_lo_u32 v11, v7, s19
	v_mad_u64_u32 v[9:10], s[0:1], v7, s18, 0
	s_load_dwordx2 s[0:1], s[6:7], 0x0
	s_add_u32 s16, s16, 1
	v_add3_u32 v4, v10, v11, v4
	v_sub_co_u32_e32 v5, vcc, v5, v9
	v_subb_co_u32_e32 v4, vcc, v6, v4, vcc
	s_waitcnt lgkmcnt(0)
	v_mul_lo_u32 v4, s0, v4
	v_mul_lo_u32 v6, s1, v5
	v_mad_u64_u32 v[1:2], s[0:1], s0, v5, v[1:2]
	s_addc_u32 s17, s17, 0
	s_add_u32 s6, s6, 8
	v_add3_u32 v2, v6, v2, v4
	v_mov_b32_e32 v4, s10
	v_mov_b32_e32 v5, s11
	s_addc_u32 s7, s7, 0
	v_cmp_ge_u64_e32 vcc, s[16:17], v[4:5]
	s_add_u32 s14, s14, 8
	s_addc_u32 s15, s15, 0
	s_cbranch_vccnz .LBB0_9
; %bb.7:                                ;   in Loop: Header=BB0_2 Depth=1
	v_mov_b32_e32 v5, v7
	v_mov_b32_e32 v6, v8
	s_branch .LBB0_2
.LBB0_8:
	v_mov_b32_e32 v8, v6
	v_mov_b32_e32 v7, v5
.LBB0_9:
	s_lshl_b64 s[0:1], s[10:11], 3
	s_add_u32 s0, s12, s0
	s_addc_u32 s1, s13, s1
	s_load_dwordx2 s[6:7], s[0:1], 0x0
	s_load_dwordx2 s[10:11], s[4:5], 0x20
                                        ; implicit-def: $vgpr56
                                        ; implicit-def: $vgpr61
                                        ; implicit-def: $vgpr60
                                        ; implicit-def: $vgpr59
                                        ; implicit-def: $vgpr58
	s_waitcnt lgkmcnt(0)
	v_mad_u64_u32 v[1:2], s[0:1], s6, v7, v[1:2]
	s_mov_b32 s0, 0x2302303
	v_mul_lo_u32 v3, s6, v8
	v_mul_lo_u32 v4, s7, v7
	v_mul_hi_u32 v5, v0, s0
	v_cmp_gt_u64_e64 s[0:1], s[10:11], v[7:8]
	v_cmp_le_u64_e32 vcc, s[10:11], v[7:8]
	v_add3_u32 v2, v4, v2, v3
	v_mul_u32_u24_e32 v3, 0x75, v5
	v_sub_u32_e32 v52, v0, v3
	s_and_saveexec_b64 s[4:5], vcc
	s_xor_b64 s[4:5], exec, s[4:5]
; %bb.10:
	v_add_u32_e32 v56, 0x75, v52
	v_add_u32_e32 v61, 0xea, v52
	;; [unrolled: 1-line block ×5, first 2 shown]
; %bb.11:
	s_or_saveexec_b64 s[4:5], s[4:5]
	v_lshlrev_b64 v[54:55], 4, v[1:2]
	s_xor_b64 exec, exec, s[4:5]
	s_cbranch_execz .LBB0_13
; %bb.12:
	v_mov_b32_e32 v53, 0
	v_mov_b32_e32 v0, s3
	v_add_co_u32_e32 v2, vcc, s2, v54
	v_addc_co_u32_e32 v3, vcc, v0, v55, vcc
	v_lshlrev_b64 v[0:1], 4, v[52:53]
	s_movk_i32 s6, 0x1000
	v_add_co_u32_e32 v39, vcc, v2, v0
	v_addc_co_u32_e32 v40, vcc, v3, v1, vcc
	v_add_co_u32_e32 v24, vcc, s6, v39
	s_movk_i32 s7, 0x2000
	v_addc_co_u32_e32 v25, vcc, 0, v40, vcc
	v_add_co_u32_e32 v32, vcc, s7, v39
	v_addc_co_u32_e32 v33, vcc, 0, v40, vcc
	s_movk_i32 s6, 0x3000
	v_add_co_u32_e32 v41, vcc, s6, v39
	v_addc_co_u32_e32 v42, vcc, 0, v40, vcc
	v_add_co_u32_e32 v48, vcc, 0x4000, v39
	v_addc_co_u32_e32 v49, vcc, 0, v40, vcc
	v_add_co_u32_e32 v50, vcc, 0x5000, v39
	global_load_dwordx4 v[0:3], v[39:40], off
	global_load_dwordx4 v[4:7], v[39:40], off offset:1872
	global_load_dwordx4 v[8:11], v[39:40], off offset:3744
	;; [unrolled: 1-line block ×5, first 2 shown]
	s_nop 0
	global_load_dwordx4 v[24:27], v[32:33], off offset:3040
	global_load_dwordx4 v[28:31], v[41:42], off offset:816
	s_nop 0
	global_load_dwordx4 v[32:35], v[41:42], off offset:2688
	global_load_dwordx4 v[36:39], v[48:49], off offset:464
	v_addc_co_u32_e32 v51, vcc, 0, v40, vcc
	global_load_dwordx4 v[40:43], v[48:49], off offset:2336
	global_load_dwordx4 v[44:47], v[50:51], off offset:112
	v_lshl_add_u32 v48, v52, 4, 0
	v_add_u32_e32 v56, 0x75, v52
	v_add_u32_e32 v61, 0xea, v52
	;; [unrolled: 1-line block ×5, first 2 shown]
	s_waitcnt vmcnt(11)
	ds_write_b128 v48, v[0:3]
	s_waitcnt vmcnt(10)
	ds_write_b128 v48, v[4:7] offset:1872
	s_waitcnt vmcnt(9)
	ds_write_b128 v48, v[8:11] offset:3744
	;; [unrolled: 2-line block ×11, first 2 shown]
.LBB0_13:
	s_or_b64 exec, exec, s[4:5]
	v_lshlrev_b32_e32 v53, 4, v52
	v_add_u32_e32 v135, 0, v53
	s_waitcnt lgkmcnt(0)
	s_barrier
	ds_read_b128 v[0:3], v135 offset:11232
	ds_read_b128 v[4:7], v135
	ds_read_b128 v[8:11], v135 offset:1872
	ds_read_b128 v[12:15], v135 offset:13104
	;; [unrolled: 1-line block ×10, first 2 shown]
	s_waitcnt lgkmcnt(10)
	v_add_f64 v[0:1], v[4:5], -v[0:1]
	v_add_f64 v[2:3], v[6:7], -v[2:3]
	s_waitcnt lgkmcnt(8)
	v_add_f64 v[12:13], v[8:9], -v[12:13]
	v_add_f64 v[14:15], v[10:11], -v[14:15]
	v_add_u32_e32 v48, v135, v53
	s_waitcnt lgkmcnt(0)
	s_barrier
	v_fma_f64 v[4:5], v[4:5], 2.0, -v[0:1]
	v_fma_f64 v[6:7], v[6:7], 2.0, -v[2:3]
	v_lshl_add_u32 v137, v56, 5, 0
	v_lshl_add_u32 v138, v61, 5, 0
	v_and_b32_e32 v82, 1, v52
	ds_write_b128 v48, v[4:7]
	ds_write_b128 v48, v[0:3] offset:16
	v_add_f64 v[4:5], v[16:17], -v[24:25]
	v_add_f64 v[6:7], v[18:19], -v[26:27]
	v_fma_f64 v[0:1], v[8:9], 2.0, -v[12:13]
	v_fma_f64 v[2:3], v[10:11], 2.0, -v[14:15]
	v_add_f64 v[8:9], v[20:21], -v[28:29]
	v_add_f64 v[10:11], v[22:23], -v[30:31]
	;; [unrolled: 1-line block ×6, first 2 shown]
	v_fma_f64 v[16:17], v[16:17], 2.0, -v[4:5]
	v_fma_f64 v[18:19], v[18:19], 2.0, -v[6:7]
	;; [unrolled: 1-line block ×8, first 2 shown]
	ds_write_b128 v137, v[0:3]
	ds_write_b128 v137, v[12:15] offset:16
	ds_write_b128 v138, v[16:19]
	ds_write_b128 v138, v[4:7] offset:16
	v_and_b32_e32 v5, 1, v56
	v_lshl_add_u32 v139, v60, 5, 0
	v_lshl_add_u32 v140, v59, 5, 0
	v_lshl_add_u32 v136, v58, 5, 0
	v_lshlrev_b32_e32 v0, 4, v5
	v_lshlrev_b32_e32 v4, 4, v82
	ds_write_b128 v139, v[20:23]
	ds_write_b128 v139, v[8:11] offset:16
	ds_write_b128 v140, v[32:35]
	ds_write_b128 v140, v[24:27] offset:16
	;; [unrolled: 2-line block ×3, first 2 shown]
	s_waitcnt lgkmcnt(0)
	s_barrier
	global_load_dwordx4 v[0:3], v0, s[8:9]
	v_and_b32_e32 v51, 1, v60
	global_load_dwordx4 v[7:10], v4, s[8:9]
	v_lshlrev_b32_e32 v4, 4, v51
	v_and_b32_e32 v83, 1, v58
	global_load_dwordx4 v[11:14], v4, s[8:9]
	v_lshlrev_b32_e32 v4, 4, v83
	global_load_dwordx4 v[15:18], v4, s[8:9]
	s_movk_i32 s4, 0xfc
	v_lshlrev_b32_e32 v62, 1, v52
	v_lshlrev_b32_e32 v63, 4, v56
	v_and_or_b32 v19, v62, s4, v82
	v_sub_u32_e32 v4, v137, v63
	v_lshl_add_u32 v86, v19, 4, 0
	ds_read_b128 v[19:22], v135 offset:13104
	ds_read_b128 v[23:26], v135 offset:14976
	;; [unrolled: 1-line block ×5, first 2 shown]
	ds_read_b128 v[39:42], v135
	ds_read_b128 v[43:46], v135 offset:20592
	ds_read_b128 v[47:50], v4
	v_lshlrev_b32_e32 v67, 4, v61
	v_lshlrev_b32_e32 v57, 4, v58
	;; [unrolled: 1-line block ×4, first 2 shown]
	v_sub_u32_e32 v6, v138, v67
	v_sub_u32_e32 v66, v136, v57
	;; [unrolled: 1-line block ×4, first 2 shown]
	s_movk_i32 s4, 0x1fc
	v_and_b32_e32 v92, 3, v56
	v_and_b32_e32 v93, 3, v61
	;; [unrolled: 1-line block ×3, first 2 shown]
	s_mov_b32 s7, 0xbfebb67a
	s_waitcnt vmcnt(3) lgkmcnt(7)
	v_mul_f64 v[64:65], v[21:22], v[2:3]
	v_mul_f64 v[2:3], v[19:20], v[2:3]
	s_waitcnt vmcnt(2) lgkmcnt(3)
	v_mul_f64 v[70:71], v[37:38], v[9:10]
	v_mul_f64 v[72:73], v[35:36], v[9:10]
	;; [unrolled: 1-line block ×4, first 2 shown]
	s_waitcnt vmcnt(1)
	v_mul_f64 v[74:75], v[29:30], v[13:14]
	v_mul_f64 v[13:14], v[27:28], v[13:14]
	v_fma_f64 v[19:20], v[19:20], v[0:1], -v[64:65]
	v_fma_f64 v[21:22], v[21:22], v[0:1], v[2:3]
	v_fma_f64 v[35:36], v[35:36], v[7:8], -v[70:71]
	v_fma_f64 v[37:38], v[37:38], v[7:8], v[72:73]
	v_mul_f64 v[80:81], v[33:34], v[9:10]
	v_mul_f64 v[9:10], v[31:32], v[9:10]
	s_waitcnt vmcnt(0) lgkmcnt(1)
	v_mul_f64 v[70:71], v[45:46], v[17:18]
	v_mul_f64 v[17:18], v[43:44], v[17:18]
	s_waitcnt lgkmcnt(0)
	v_add_f64 v[19:20], v[47:48], -v[19:20]
	v_add_f64 v[21:22], v[49:50], -v[21:22]
	;; [unrolled: 1-line block ×4, first 2 shown]
	v_fma_f64 v[35:36], v[23:24], v[7:8], -v[76:77]
	v_fma_f64 v[37:38], v[25:26], v[7:8], v[78:79]
	v_fma_f64 v[64:65], v[27:28], v[11:12], -v[74:75]
	v_fma_f64 v[72:73], v[29:30], v[11:12], v[13:14]
	;; [unrolled: 2-line block ×3, first 2 shown]
	v_fma_f64 v[7:8], v[39:40], 2.0, -v[0:1]
	v_fma_f64 v[9:10], v[41:42], 2.0, -v[2:3]
	v_fma_f64 v[43:44], v[43:44], v[15:16], -v[70:71]
	v_fma_f64 v[45:46], v[45:46], v[15:16], v[17:18]
	ds_read_b128 v[11:14], v66
	ds_read_b128 v[15:18], v85
	;; [unrolled: 1-line block ×4, first 2 shown]
	s_waitcnt lgkmcnt(0)
	s_barrier
	ds_write_b128 v86, v[0:3] offset:32
	v_fma_f64 v[0:1], v[47:48], 2.0, -v[19:20]
	v_fma_f64 v[2:3], v[49:50], 2.0, -v[21:22]
	v_add_f64 v[31:32], v[23:24], -v[35:36]
	v_add_f64 v[33:34], v[25:26], -v[37:38]
	ds_write_b128 v86, v[7:10]
	v_add_f64 v[7:8], v[27:28], -v[64:65]
	v_add_f64 v[9:10], v[29:30], -v[72:73]
	v_lshlrev_b32_e32 v66, 1, v56
	v_and_or_b32 v5, v66, s4, v5
	v_lshl_add_u32 v5, v5, 4, 0
	ds_write_b128 v5, v[0:3]
	v_fma_f64 v[0:1], v[23:24], 2.0, -v[31:32]
	v_fma_f64 v[2:3], v[25:26], 2.0, -v[33:34]
	ds_write_b128 v5, v[19:22] offset:32
	v_fma_f64 v[19:20], v[27:28], 2.0, -v[7:8]
	v_fma_f64 v[21:22], v[29:30], 2.0, -v[9:10]
	s_movk_i32 s4, 0x3fc
	v_lshlrev_b32_e32 v65, 1, v61
	v_and_or_b32 v5, v65, s4, v82
	v_lshl_add_u32 v5, v5, 4, 0
	ds_write_b128 v5, v[0:3]
	ds_write_b128 v5, v[31:34] offset:32
	v_add_f64 v[0:1], v[15:16], -v[74:75]
	v_add_f64 v[2:3], v[17:18], -v[76:77]
	v_lshlrev_b32_e32 v64, 1, v60
	v_and_or_b32 v5, v64, s4, v51
	v_lshl_add_u32 v5, v5, 4, 0
	ds_write_b128 v5, v[19:22]
	v_add_f64 v[19:20], v[11:12], -v[43:44]
	v_add_f64 v[21:22], v[13:14], -v[45:46]
	v_fma_f64 v[15:16], v[15:16], 2.0, -v[0:1]
	v_fma_f64 v[17:18], v[17:18], 2.0, -v[2:3]
	ds_write_b128 v5, v[7:10] offset:32
	s_movk_i32 s4, 0x7fc
	v_lshlrev_b32_e32 v5, 1, v59
	v_and_or_b32 v5, v5, s4, v82
	v_fma_f64 v[7:8], v[11:12], 2.0, -v[19:20]
	v_fma_f64 v[9:10], v[13:14], 2.0, -v[21:22]
	v_lshl_add_u32 v5, v5, 4, 0
	ds_write_b128 v5, v[15:18]
	ds_write_b128 v5, v[0:3] offset:32
	s_movk_i32 s4, 0x5fc
	v_lshlrev_b32_e32 v0, 1, v58
	v_and_or_b32 v0, v0, s4, v83
	v_and_b32_e32 v51, 3, v52
	v_lshl_add_u32 v0, v0, 4, 0
	v_lshlrev_b32_e32 v5, 5, v51
	ds_write_b128 v0, v[7:10]
	ds_write_b128 v0, v[19:22] offset:32
	s_waitcnt lgkmcnt(0)
	s_barrier
	global_load_dwordx4 v[0:3], v5, s[8:9] offset:32
	global_load_dwordx4 v[7:10], v5, s[8:9] offset:48
	v_lshlrev_b32_e32 v5, 5, v92
	global_load_dwordx4 v[11:14], v5, s[8:9] offset:32
	global_load_dwordx4 v[15:18], v5, s[8:9] offset:48
	v_lshlrev_b32_e32 v5, 5, v93
	global_load_dwordx4 v[19:22], v5, s[8:9] offset:32
	global_load_dwordx4 v[23:26], v5, s[8:9] offset:48
	v_lshlrev_b32_e32 v5, 5, v94
	global_load_dwordx4 v[27:30], v5, s[8:9] offset:32
	global_load_dwordx4 v[31:34], v5, s[8:9] offset:48
	ds_read_b128 v[35:38], v85
	ds_read_b128 v[39:42], v84
	ds_read_b128 v[43:46], v135 offset:14976
	ds_read_b128 v[47:50], v135 offset:16848
	;; [unrolled: 1-line block ×3, first 2 shown]
	ds_read_b128 v[74:77], v135
	s_mov_b32 s4, 0xe8584caa
	s_mov_b32 s5, 0x3febb67a
	;; [unrolled: 1-line block ×3, first 2 shown]
	s_waitcnt vmcnt(7) lgkmcnt(5)
	v_mul_f64 v[78:79], v[37:38], v[2:3]
	v_mul_f64 v[2:3], v[35:36], v[2:3]
	s_waitcnt vmcnt(6) lgkmcnt(3)
	v_mul_f64 v[80:81], v[45:46], v[9:10]
	v_mul_f64 v[9:10], v[43:44], v[9:10]
	;; [unrolled: 3-line block ×3, first 2 shown]
	s_waitcnt vmcnt(4)
	v_mul_f64 v[84:85], v[49:50], v[17:18]
	v_mul_f64 v[17:18], v[47:48], v[17:18]
	v_fma_f64 v[78:79], v[35:36], v[0:1], -v[78:79]
	v_fma_f64 v[86:87], v[37:38], v[0:1], v[2:3]
	ds_read_b128 v[0:3], v135 offset:11232
	v_fma_f64 v[80:81], v[43:44], v[7:8], -v[80:81]
	v_fma_f64 v[88:89], v[45:46], v[7:8], v[9:10]
	ds_read_b128 v[7:10], v135 offset:18720
	ds_read_b128 v[35:38], v135 offset:13104
	v_fma_f64 v[70:71], v[70:71], v[11:12], -v[82:83]
	s_waitcnt vmcnt(3) lgkmcnt(2)
	v_mul_f64 v[82:83], v[2:3], v[21:22]
	v_mul_f64 v[21:22], v[0:1], v[21:22]
	s_waitcnt vmcnt(2) lgkmcnt(1)
	v_mul_f64 v[90:91], v[9:10], v[25:26]
	ds_read_b128 v[43:46], v135 offset:20592
	v_mul_f64 v[25:26], v[7:8], v[25:26]
	v_fma_f64 v[72:73], v[72:73], v[11:12], v[13:14]
	v_fma_f64 v[47:48], v[47:48], v[15:16], -v[84:85]
	v_fma_f64 v[14:15], v[49:50], v[15:16], v[17:18]
	v_fma_f64 v[49:50], v[0:1], v[19:20], -v[82:83]
	v_fma_f64 v[82:83], v[2:3], v[19:20], v[21:22]
	s_waitcnt vmcnt(1) lgkmcnt(1)
	v_mul_f64 v[0:1], v[37:38], v[29:30]
	v_fma_f64 v[84:85], v[7:8], v[23:24], -v[90:91]
	v_mul_f64 v[2:3], v[35:36], v[29:30]
	s_waitcnt vmcnt(0) lgkmcnt(0)
	v_mul_f64 v[7:8], v[45:46], v[33:34]
	v_add_f64 v[11:12], v[78:79], v[80:81]
	v_fma_f64 v[90:91], v[9:10], v[23:24], v[25:26]
	v_mul_f64 v[9:10], v[43:44], v[33:34]
	v_add_f64 v[16:17], v[86:87], v[88:89]
	v_fma_f64 v[33:34], v[35:36], v[27:28], -v[0:1]
	v_add_f64 v[0:1], v[76:77], v[86:87]
	v_add_f64 v[18:19], v[74:75], v[78:79]
	v_fma_f64 v[35:36], v[37:38], v[27:28], v[2:3]
	v_fma_f64 v[43:44], v[43:44], v[31:32], -v[7:8]
	v_fma_f64 v[7:8], v[11:12], -0.5, v[74:75]
	v_add_f64 v[20:21], v[86:87], -v[88:89]
	v_add_f64 v[26:27], v[70:71], v[47:48]
	v_fma_f64 v[37:38], v[45:46], v[31:32], v[9:10]
	ds_read_b128 v[10:13], v4
	ds_read_b128 v[22:25], v6
	v_fma_f64 v[16:17], v[16:17], -0.5, v[76:77]
	v_add_f64 v[2:3], v[0:1], v[88:89]
	v_add_f64 v[0:1], v[18:19], v[80:81]
	v_add_f64 v[18:19], v[78:79], -v[80:81]
	v_fma_f64 v[4:5], v[20:21], s[4:5], v[7:8]
	v_fma_f64 v[8:9], v[20:21], s[6:7], v[7:8]
	v_add_f64 v[20:21], v[72:73], v[14:15]
	s_waitcnt lgkmcnt(1)
	v_add_f64 v[28:29], v[12:13], v[72:73]
	v_fma_f64 v[26:27], v[26:27], -0.5, v[10:11]
	v_add_f64 v[30:31], v[10:11], v[70:71]
	v_add_f64 v[45:46], v[72:73], -v[14:15]
	v_fma_f64 v[6:7], v[18:19], s[6:7], v[16:17]
	v_fma_f64 v[10:11], v[18:19], s[4:5], v[16:17]
	v_add_f64 v[70:71], v[70:71], -v[47:48]
	v_fma_f64 v[72:73], v[20:21], -0.5, v[12:13]
	v_add_f64 v[14:15], v[28:29], v[14:15]
	v_add_f64 v[28:29], v[49:50], v[84:85]
	;; [unrolled: 1-line block ×3, first 2 shown]
	v_fma_f64 v[16:17], v[45:46], s[4:5], v[26:27]
	v_fma_f64 v[20:21], v[45:46], s[6:7], v[26:27]
	v_add_f64 v[26:27], v[82:83], v[90:91]
	s_waitcnt lgkmcnt(0)
	v_add_f64 v[30:31], v[24:25], v[82:83]
	v_add_f64 v[45:46], v[22:23], v[49:50]
	;; [unrolled: 1-line block ×3, first 2 shown]
	v_fma_f64 v[18:19], v[70:71], s[6:7], v[72:73]
	v_fma_f64 v[47:48], v[28:29], -0.5, v[22:23]
	v_fma_f64 v[22:23], v[70:71], s[4:5], v[72:73]
	v_add_f64 v[72:73], v[41:42], v[35:36]
	v_fma_f64 v[70:71], v[26:27], -0.5, v[24:25]
	v_add_f64 v[26:27], v[30:31], v[90:91]
	v_add_f64 v[30:31], v[35:36], v[37:38]
	;; [unrolled: 1-line block ×3, first 2 shown]
	v_add_f64 v[45:46], v[49:50], -v[84:85]
	v_fma_f64 v[49:50], v[76:77], -0.5, v[39:40]
	v_add_f64 v[76:77], v[39:40], v[33:34]
	v_add_f64 v[78:79], v[35:36], -v[37:38]
	v_add_f64 v[74:75], v[82:83], -v[90:91]
	;; [unrolled: 1-line block ×3, first 2 shown]
	v_fma_f64 v[80:81], v[30:31], -0.5, v[41:42]
	v_add_f64 v[38:39], v[72:73], v[37:38]
	v_fma_f64 v[30:31], v[45:46], s[6:7], v[70:71]
	v_fma_f64 v[34:35], v[45:46], s[4:5], v[70:71]
	v_add_f64 v[36:37], v[76:77], v[43:44]
	v_fma_f64 v[40:41], v[78:79], s[4:5], v[49:50]
	v_fma_f64 v[44:45], v[78:79], s[6:7], v[49:50]
	v_lshrrev_b32_e32 v49, 2, v56
	v_fma_f64 v[28:29], v[74:75], s[4:5], v[47:48]
	v_fma_f64 v[32:33], v[74:75], s[6:7], v[47:48]
	v_lshrrev_b32_e32 v48, 2, v52
	v_mul_lo_u32 v49, v49, 12
	v_mul_u32_u24_e32 v48, 12, v48
	v_or_b32_e32 v48, v48, v51
	v_lshl_add_u32 v48, v48, 4, 0
	s_barrier
	ds_write_b128 v48, v[0:3]
	ds_write_b128 v48, v[4:7] offset:64
	ds_write_b128 v48, v[8:11] offset:128
	v_or_b32_e32 v48, v49, v92
	v_lshrrev_b32_e32 v49, 2, v61
	v_mul_lo_u32 v49, v49, 12
	v_fma_f64 v[42:43], v[82:83], s[6:7], v[80:81]
	v_fma_f64 v[46:47], v[82:83], s[4:5], v[80:81]
	v_lshl_add_u32 v48, v48, 4, 0
	ds_write_b128 v48, v[12:15]
	ds_write_b128 v48, v[16:19] offset:64
	ds_write_b128 v48, v[20:23] offset:128
	v_or_b32_e32 v48, v49, v93
	v_lshrrev_b32_e32 v49, 2, v60
	v_mul_lo_u32 v49, v49, 12
	v_lshl_add_u32 v48, v48, 4, 0
	ds_write_b128 v48, v[24:27]
	ds_write_b128 v48, v[28:31] offset:64
	ds_write_b128 v48, v[32:35] offset:128
	s_movk_i32 s4, 0x6c
	v_or_b32_e32 v48, v49, v94
	v_lshl_add_u32 v48, v48, 4, 0
	v_cmp_gt_u32_e32 vcc, s4, v52
	ds_write_b128 v48, v[36:39]
	ds_write_b128 v48, v[40:43] offset:64
	ds_write_b128 v48, v[44:47] offset:128
	s_waitcnt lgkmcnt(0)
	s_barrier
	s_waitcnt lgkmcnt(0)
                                        ; implicit-def: $vgpr50_vgpr51
	s_and_saveexec_b64 s[4:5], vcc
	s_cbranch_execz .LBB0_15
; %bb.14:
	ds_read_b128 v[0:3], v135
	ds_read_b128 v[4:7], v135 offset:1728
	ds_read_b128 v[8:11], v135 offset:3456
	;; [unrolled: 1-line block ×12, first 2 shown]
.LBB0_15:
	s_or_b64 exec, exec, s[4:5]
	v_sub_u32_e32 v143, 0, v63
	v_sub_u32_e32 v141, 0, v67
	;; [unrolled: 1-line block ×4, first 2 shown]
	s_waitcnt lgkmcnt(0)
	s_barrier
	s_and_saveexec_b64 s[4:5], vcc
	s_cbranch_execz .LBB0_17
; %bb.16:
	s_movk_i32 s6, 0xab
	v_mul_lo_u16_sdwa v63, v52, s6 dst_sel:DWORD dst_unused:UNUSED_PAD src0_sel:BYTE_0 src1_sel:DWORD
	v_lshrrev_b16_e32 v63, 11, v63
	v_mul_lo_u16_e32 v67, 12, v63
	v_sub_u16_e32 v145, v52, v67
	v_mov_b32_e32 v67, 12
	v_mul_u32_u24_sdwa v67, v145, v67 dst_sel:DWORD dst_unused:UNUSED_PAD src0_sel:BYTE_0 src1_sel:DWORD
	v_lshlrev_b32_e32 v71, 4, v67
	global_load_dwordx4 v[67:70], v71, s[8:9] offset:240
	global_load_dwordx4 v[75:78], v71, s[8:9] offset:256
	;; [unrolled: 1-line block ×12, first 2 shown]
	s_mov_b32 s10, 0x93053d00
	s_mov_b32 s11, 0xbfef11f4
	;; [unrolled: 1-line block ×36, first 2 shown]
	s_waitcnt vmcnt(11)
	v_mul_f64 v[71:72], v[24:25], v[69:70]
	v_mul_f64 v[69:70], v[26:27], v[69:70]
	s_waitcnt vmcnt(10)
	v_mul_f64 v[91:92], v[28:29], v[77:78]
	v_mul_f64 v[77:78], v[30:31], v[77:78]
	s_waitcnt vmcnt(9)
	v_mul_f64 v[115:116], v[22:23], v[81:82]
	s_waitcnt vmcnt(7)
	;; [unrolled: 2-line block ×5, first 2 shown]
	v_mul_f64 v[148:149], v[48:49], v[107:108]
	v_mul_f64 v[103:104], v[6:7], v[103:104]
	s_waitcnt vmcnt(2)
	v_mul_f64 v[150:151], v[44:45], v[111:112]
	v_mul_f64 v[107:108], v[50:51], v[107:108]
	s_waitcnt vmcnt(0)
	v_mul_f64 v[154:155], v[40:41], v[123:124]
	v_mul_f64 v[156:157], v[42:43], v[123:124]
	v_fma_f64 v[73:74], v[26:27], v[67:68], v[71:72]
	v_fma_f64 v[71:72], v[24:25], v[67:68], -v[69:70]
	v_fma_f64 v[123:124], v[6:7], v[101:102], v[146:147]
	v_fma_f64 v[24:25], v[50:51], v[105:106], v[148:149]
	v_mul_f64 v[113:114], v[20:21], v[81:82]
	v_mul_f64 v[127:128], v[32:33], v[85:86]
	;; [unrolled: 1-line block ×7, first 2 shown]
	v_fma_f64 v[67:68], v[28:29], v[75:76], -v[77:78]
	v_fma_f64 v[77:78], v[20:21], v[79:80], -v[115:116]
	v_fma_f64 v[95:96], v[18:19], v[87:88], v[125:126]
	v_fma_f64 v[115:116], v[10:11], v[97:98], v[133:134]
	v_fma_f64 v[125:126], v[4:5], v[101:102], -v[103:104]
	v_fma_f64 v[28:29], v[46:47], v[109:110], v[150:151]
	v_fma_f64 v[26:27], v[48:49], v[105:106], -v[107:108]
	v_add_f64 v[133:134], v[123:124], v[24:25]
	v_mul_f64 v[85:86], v[34:35], v[85:86]
	v_mul_f64 v[89:90], v[18:19], v[89:90]
	;; [unrolled: 1-line block ×3, first 2 shown]
	v_fma_f64 v[69:70], v[30:31], v[75:76], v[91:92]
	v_fma_f64 v[81:82], v[22:23], v[79:80], v[113:114]
	v_fma_f64 v[113:114], v[8:9], v[97:98], -v[99:100]
	v_fma_f64 v[30:31], v[44:45], v[109:110], -v[111:112]
	v_fma_f64 v[111:112], v[14:15], v[117:118], v[152:153]
	v_fma_f64 v[42:43], v[42:43], v[121:122], v[154:155]
	v_fma_f64 v[40:41], v[40:41], v[121:122], -v[156:157]
	v_fma_f64 v[34:35], v[34:35], v[83:84], v[127:128]
	v_add_f64 v[121:122], v[115:116], v[28:29]
	v_add_f64 v[127:128], v[125:126], -v[26:27]
	v_mul_f64 v[4:5], v[133:134], s[10:11]
	v_fma_f64 v[91:92], v[16:17], v[87:88], -v[89:90]
	v_fma_f64 v[38:39], v[38:39], v[93:94], v[129:130]
	v_fma_f64 v[36:37], v[36:37], v[93:94], -v[131:132]
	v_fma_f64 v[109:110], v[12:13], v[117:118], -v[119:120]
	v_add_f64 v[131:132], v[123:124], -v[24:25]
	v_add_f64 v[89:90], v[113:114], -v[30:31]
	v_add_f64 v[117:118], v[111:112], v[42:43]
	v_mul_f64 v[6:7], v[121:122], s[6:7]
	v_fma_f64 v[10:11], v[127:128], s[12:13], v[4:5]
	v_add_f64 v[129:130], v[125:126], v[26:27]
	v_add_f64 v[103:104], v[115:116], -v[28:29]
	v_add_f64 v[87:88], v[109:110], -v[40:41]
	v_add_f64 v[105:106], v[95:96], v[38:39]
	v_mul_f64 v[8:9], v[131:132], s[14:15]
	v_mul_f64 v[14:15], v[117:118], s[16:17]
	v_fma_f64 v[16:17], v[89:90], s[26:27], v[6:7]
	v_add_f64 v[10:11], v[2:3], v[10:11]
	v_fma_f64 v[32:33], v[32:33], v[83:84], -v[85:86]
	v_add_f64 v[79:80], v[113:114], v[30:31]
	v_add_f64 v[101:102], v[111:112], -v[42:43]
	v_add_f64 v[85:86], v[91:92], -v[36:37]
	v_add_f64 v[99:100], v[81:82], v[34:35]
	v_mul_f64 v[12:13], v[103:104], s[18:19]
	v_fma_f64 v[18:19], v[129:130], s[10:11], v[8:9]
	v_mul_f64 v[22:23], v[105:106], s[24:25]
	v_fma_f64 v[107:108], v[87:88], s[22:23], v[14:15]
	v_add_f64 v[10:11], v[16:17], v[10:11]
	v_add_f64 v[48:49], v[109:110], v[40:41]
	v_add_f64 v[97:98], v[95:96], -v[38:39]
	v_add_f64 v[83:84], v[77:78], -v[32:33]
	v_mul_f64 v[20:21], v[101:102], s[20:21]
	v_fma_f64 v[75:76], v[79:80], s[6:7], v[12:13]
	v_add_f64 v[18:19], v[0:1], v[18:19]
	v_add_f64 v[93:94], v[73:74], v[69:70]
	v_mul_f64 v[146:147], v[99:100], s[30:31]
	v_fma_f64 v[148:149], v[85:86], s[28:29], v[22:23]
	v_add_f64 v[10:11], v[107:108], v[10:11]
	v_fma_f64 v[4:5], v[127:128], s[14:15], v[4:5]
	v_add_f64 v[46:47], v[91:92], v[36:37]
	v_add_f64 v[50:51], v[81:82], -v[34:35]
	v_mul_f64 v[16:17], v[97:98], s[34:35]
	v_fma_f64 v[119:120], v[48:49], s[16:17], v[20:21]
	v_add_f64 v[18:19], v[75:76], v[18:19]
	v_add_f64 v[75:76], v[71:72], -v[67:68]
	v_mul_f64 v[152:153], v[93:94], s[36:37]
	v_fma_f64 v[154:155], v[83:84], s[42:43], v[146:147]
	v_add_f64 v[10:11], v[148:149], v[10:11]
	v_fma_f64 v[6:7], v[89:90], s[18:19], v[6:7]
	v_add_f64 v[4:5], v[2:3], v[4:5]
	v_fma_f64 v[8:9], v[129:130], s[10:11], -v[8:9]
	v_add_f64 v[44:45], v[77:78], v[32:33]
	v_mul_f64 v[150:151], v[50:51], s[38:39]
	v_fma_f64 v[107:108], v[46:47], s[24:25], v[16:17]
	v_add_f64 v[18:19], v[119:120], v[18:19]
	v_fma_f64 v[148:149], v[75:76], s[40:41], v[152:153]
	v_add_f64 v[10:11], v[154:155], v[10:11]
	v_mul_f64 v[154:155], v[133:134], s[16:17]
	v_fma_f64 v[14:15], v[87:88], s[20:21], v[14:15]
	v_fma_f64 v[12:13], v[79:80], s[6:7], -v[12:13]
	v_add_f64 v[4:5], v[6:7], v[4:5]
	v_add_f64 v[8:9], v[0:1], v[8:9]
	v_fma_f64 v[119:120], v[44:45], s[30:31], v[150:151]
	v_add_f64 v[18:19], v[107:108], v[18:19]
	v_add_f64 v[107:108], v[73:74], -v[69:70]
	v_add_f64 v[6:7], v[148:149], v[10:11]
	v_fma_f64 v[10:11], v[127:128], s[22:23], v[154:155]
	v_mul_f64 v[148:149], v[121:122], s[36:37]
	v_add_f64 v[4:5], v[14:15], v[4:5]
	v_mul_f64 v[14:15], v[131:132], s[20:21]
	v_fma_f64 v[22:23], v[85:86], s[34:35], v[22:23]
	v_add_f64 v[8:9], v[12:13], v[8:9]
	v_fma_f64 v[12:13], v[48:49], s[16:17], -v[20:21]
	v_add_f64 v[18:19], v[119:120], v[18:19]
	v_add_f64 v[119:120], v[71:72], v[67:68]
	v_mul_f64 v[156:157], v[107:108], s[44:45]
	v_add_f64 v[10:11], v[2:3], v[10:11]
	v_fma_f64 v[20:21], v[89:90], s[40:41], v[148:149]
	v_mul_f64 v[158:159], v[117:118], s[24:25]
	v_fma_f64 v[162:163], v[129:130], s[16:17], v[14:15]
	v_mul_f64 v[164:165], v[103:104], s[44:45]
	v_add_f64 v[22:23], v[22:23], v[4:5]
	v_add_f64 v[4:5], v[12:13], v[8:9]
	v_fma_f64 v[8:9], v[46:47], s[24:25], -v[16:17]
	v_fma_f64 v[160:161], v[119:120], s[36:37], v[156:157]
	v_add_f64 v[10:11], v[20:21], v[10:11]
	v_fma_f64 v[12:13], v[87:88], s[34:35], v[158:159]
	v_mul_f64 v[16:17], v[105:106], s[10:11]
	v_add_f64 v[20:21], v[0:1], v[162:163]
	v_fma_f64 v[162:163], v[79:80], s[36:37], v[164:165]
	v_mul_f64 v[166:167], v[101:102], s[28:29]
	v_fma_f64 v[146:147], v[83:84], s[38:39], v[146:147]
	v_add_f64 v[8:9], v[8:9], v[4:5]
	v_fma_f64 v[150:151], v[44:45], s[30:31], -v[150:151]
	v_add_f64 v[4:5], v[160:161], v[18:19]
	v_add_f64 v[10:11], v[12:13], v[10:11]
	v_fma_f64 v[12:13], v[85:86], s[14:15], v[16:17]
	v_add_f64 v[18:19], v[162:163], v[20:21]
	v_fma_f64 v[20:21], v[48:49], s[24:25], v[166:167]
	v_add_f64 v[22:23], v[146:147], v[22:23]
	v_mul_f64 v[146:147], v[97:98], s[12:13]
	v_add_f64 v[8:9], v[150:151], v[8:9]
	v_mul_f64 v[150:151], v[99:100], s[6:7]
	v_fma_f64 v[152:153], v[75:76], s[44:45], v[152:153]
	v_fma_f64 v[156:157], v[119:120], s[36:37], -v[156:157]
	v_add_f64 v[12:13], v[12:13], v[10:11]
	v_add_f64 v[18:19], v[20:21], v[18:19]
	v_fma_f64 v[20:21], v[127:128], s[20:21], v[154:155]
	v_fma_f64 v[154:155], v[46:47], s[10:11], v[146:147]
	v_mul_f64 v[160:161], v[50:51], s[18:19]
	v_fma_f64 v[162:163], v[83:84], s[26:27], v[150:151]
	v_add_f64 v[10:11], v[152:153], v[22:23]
	v_mul_f64 v[22:23], v[93:94], s[30:31]
	v_add_f64 v[8:9], v[156:157], v[8:9]
	v_fma_f64 v[148:149], v[89:90], s[44:45], v[148:149]
	v_add_f64 v[20:21], v[2:3], v[20:21]
	v_add_f64 v[18:19], v[154:155], v[18:19]
	v_fma_f64 v[152:153], v[44:45], s[6:7], v[160:161]
	v_add_f64 v[12:13], v[162:163], v[12:13]
	v_fma_f64 v[14:15], v[129:130], s[16:17], -v[14:15]
	v_fma_f64 v[154:155], v[75:76], s[42:43], v[22:23]
	v_mul_f64 v[156:157], v[133:134], s[30:31]
	v_mul_f64 v[162:163], v[107:108], s[38:39]
	v_add_f64 v[20:21], v[148:149], v[20:21]
	v_fma_f64 v[148:149], v[87:88], s[28:29], v[158:159]
	v_add_f64 v[18:19], v[152:153], v[18:19]
	v_fma_f64 v[152:153], v[79:80], s[36:37], -v[164:165]
	v_add_f64 v[158:159], v[0:1], v[14:15]
	v_add_f64 v[14:15], v[154:155], v[12:13]
	v_fma_f64 v[12:13], v[127:128], s[42:43], v[156:157]
	v_mul_f64 v[154:155], v[121:122], s[16:17]
	v_fma_f64 v[164:165], v[119:120], s[30:31], v[162:163]
	v_add_f64 v[20:21], v[148:149], v[20:21]
	v_mul_f64 v[148:149], v[131:132], s[38:39]
	v_fma_f64 v[16:17], v[85:86], s[12:13], v[16:17]
	v_add_f64 v[152:153], v[152:153], v[158:159]
	v_fma_f64 v[158:159], v[48:49], s[24:25], -v[166:167]
	v_add_f64 v[166:167], v[2:3], v[12:13]
	v_fma_f64 v[168:169], v[89:90], s[20:21], v[154:155]
	v_mul_f64 v[170:171], v[117:118], s[6:7]
	v_add_f64 v[12:13], v[164:165], v[18:19]
	v_fma_f64 v[18:19], v[129:130], s[30:31], v[148:149]
	v_mul_f64 v[164:165], v[103:104], s[22:23]
	v_add_f64 v[16:17], v[16:17], v[20:21]
	v_add_f64 v[20:21], v[158:159], v[152:153]
	v_fma_f64 v[146:147], v[46:47], s[10:11], -v[146:147]
	v_add_f64 v[152:153], v[168:169], v[166:167]
	v_fma_f64 v[158:159], v[87:88], s[26:27], v[170:171]
	v_mul_f64 v[166:167], v[105:106], s[36:37]
	v_add_f64 v[18:19], v[0:1], v[18:19]
	v_fma_f64 v[168:169], v[79:80], s[16:17], v[164:165]
	v_mul_f64 v[172:173], v[101:102], s[18:19]
	v_fma_f64 v[150:151], v[83:84], s[18:19], v[150:151]
	v_add_f64 v[20:21], v[146:147], v[20:21]
	v_fma_f64 v[146:147], v[44:45], s[6:7], -v[160:161]
	v_add_f64 v[152:153], v[158:159], v[152:153]
	v_fma_f64 v[158:159], v[85:86], s[44:45], v[166:167]
	v_mul_f64 v[160:161], v[99:100], s[10:11]
	v_add_f64 v[18:19], v[168:169], v[18:19]
	v_fma_f64 v[168:169], v[48:49], s[6:7], v[172:173]
	v_mul_f64 v[174:175], v[97:98], s[40:41]
	v_add_f64 v[16:17], v[150:151], v[16:17]
	v_add_f64 v[20:21], v[146:147], v[20:21]
	v_fma_f64 v[22:23], v[75:76], s[38:39], v[22:23]
	v_add_f64 v[146:147], v[158:159], v[152:153]
	v_fma_f64 v[152:153], v[127:128], s[38:39], v[156:157]
	v_fma_f64 v[150:151], v[83:84], s[14:15], v[160:161]
	v_add_f64 v[156:157], v[168:169], v[18:19]
	v_fma_f64 v[158:159], v[46:47], s[36:37], v[174:175]
	v_mul_f64 v[168:169], v[50:51], s[12:13]
	v_mul_f64 v[176:177], v[93:94], s[24:25]
	v_fma_f64 v[162:163], v[119:120], s[30:31], -v[162:163]
	v_add_f64 v[18:19], v[22:23], v[16:17]
	v_fma_f64 v[22:23], v[89:90], s[22:23], v[154:155]
	v_add_f64 v[152:153], v[2:3], v[152:153]
	v_add_f64 v[146:147], v[150:151], v[146:147]
	;; [unrolled: 1-line block ×3, first 2 shown]
	v_fma_f64 v[154:155], v[44:45], s[10:11], v[168:169]
	v_fma_f64 v[156:157], v[75:76], s[28:29], v[176:177]
	v_add_f64 v[16:17], v[162:163], v[20:21]
	v_mul_f64 v[162:163], v[133:134], s[36:37]
	v_fma_f64 v[148:149], v[129:130], s[30:31], -v[148:149]
	v_add_f64 v[20:21], v[22:23], v[152:153]
	v_fma_f64 v[152:153], v[87:88], s[18:19], v[170:171]
	v_mul_f64 v[170:171], v[131:132], s[40:41]
	v_add_f64 v[150:151], v[154:155], v[150:151]
	v_add_f64 v[22:23], v[156:157], v[146:147]
	v_mul_f64 v[156:157], v[121:122], s[10:11]
	v_fma_f64 v[154:155], v[127:128], s[44:45], v[162:163]
	v_mul_f64 v[178:179], v[103:104], s[14:15]
	v_fma_f64 v[166:167], v[85:86], s[40:41], v[166:167]
	v_add_f64 v[20:21], v[152:153], v[20:21]
	v_fma_f64 v[152:153], v[129:130], s[36:37], v[170:171]
	v_fma_f64 v[164:165], v[79:80], s[16:17], -v[164:165]
	v_add_f64 v[148:149], v[0:1], v[148:149]
	v_fma_f64 v[180:181], v[89:90], s[12:13], v[156:157]
	v_add_f64 v[154:155], v[2:3], v[154:155]
	v_mul_f64 v[182:183], v[117:118], s[30:31]
	v_fma_f64 v[184:185], v[79:80], s[10:11], v[178:179]
	v_mul_f64 v[186:187], v[101:102], s[42:43]
	v_add_f64 v[152:153], v[0:1], v[152:153]
	v_mul_f64 v[158:159], v[107:108], s[34:35]
	v_add_f64 v[166:167], v[166:167], v[20:21]
	v_add_f64 v[20:21], v[164:165], v[148:149]
	v_fma_f64 v[148:149], v[48:49], s[6:7], -v[172:173]
	v_add_f64 v[154:155], v[180:181], v[154:155]
	v_fma_f64 v[164:165], v[87:88], s[38:39], v[182:183]
	v_mul_f64 v[172:173], v[105:106], s[6:7]
	v_add_f64 v[152:153], v[184:185], v[152:153]
	v_fma_f64 v[180:181], v[48:49], s[30:31], v[186:187]
	v_mul_f64 v[184:185], v[97:98], s[18:19]
	v_fma_f64 v[146:147], v[119:120], s[24:25], v[158:159]
	v_fma_f64 v[160:161], v[83:84], s[12:13], v[160:161]
	v_add_f64 v[148:149], v[148:149], v[20:21]
	v_fma_f64 v[174:175], v[46:47], s[36:37], -v[174:175]
	v_add_f64 v[154:155], v[164:165], v[154:155]
	v_fma_f64 v[164:165], v[85:86], s[26:27], v[172:173]
	v_mul_f64 v[188:189], v[99:100], s[24:25]
	v_add_f64 v[152:153], v[180:181], v[152:153]
	v_fma_f64 v[180:181], v[46:47], s[6:7], v[184:185]
	v_mul_f64 v[190:191], v[50:51], s[28:29]
	v_add_f64 v[20:21], v[146:147], v[150:151]
	v_add_f64 v[146:147], v[160:161], v[166:167]
	;; [unrolled: 1-line block ×3, first 2 shown]
	v_fma_f64 v[150:151], v[44:45], s[10:11], -v[168:169]
	v_add_f64 v[154:155], v[164:165], v[154:155]
	v_fma_f64 v[160:161], v[83:84], s[34:35], v[188:189]
	v_add_f64 v[152:153], v[180:181], v[152:153]
	v_fma_f64 v[164:165], v[44:45], s[24:25], v[190:191]
	v_mul_f64 v[166:167], v[93:94], s[16:17]
	v_mul_f64 v[168:169], v[107:108], s[20:21]
	v_fma_f64 v[174:175], v[75:76], s[34:35], v[176:177]
	v_fma_f64 v[162:163], v[127:128], s[40:41], v[162:163]
	v_add_f64 v[150:151], v[150:151], v[148:149]
	v_fma_f64 v[158:159], v[119:120], s[24:25], -v[158:159]
	v_add_f64 v[154:155], v[160:161], v[154:155]
	v_add_f64 v[160:161], v[164:165], v[152:153]
	v_fma_f64 v[152:153], v[75:76], s[22:23], v[166:167]
	v_fma_f64 v[164:165], v[119:120], s[16:17], v[168:169]
	v_add_f64 v[148:149], v[174:175], v[146:147]
	v_mul_f64 v[174:175], v[133:134], s[24:25]
	v_fma_f64 v[156:157], v[89:90], s[14:15], v[156:157]
	v_add_f64 v[162:163], v[2:3], v[162:163]
	v_mul_f64 v[176:177], v[131:132], s[28:29]
	v_add_f64 v[146:147], v[158:159], v[150:151]
	v_add_f64 v[152:153], v[152:153], v[154:155]
	;; [unrolled: 1-line block ×3, first 2 shown]
	v_fma_f64 v[154:155], v[129:130], s[36:37], -v[170:171]
	v_fma_f64 v[158:159], v[127:128], s[34:35], v[174:175]
	v_mul_f64 v[160:161], v[121:122], s[30:31]
	v_add_f64 v[156:157], v[156:157], v[162:163]
	v_fma_f64 v[162:163], v[129:130], s[24:25], v[176:177]
	v_mul_f64 v[164:165], v[103:104], s[38:39]
	v_fma_f64 v[170:171], v[87:88], s[42:43], v[182:183]
	v_fma_f64 v[178:179], v[79:80], s[10:11], -v[178:179]
	v_add_f64 v[154:155], v[0:1], v[154:155]
	v_add_f64 v[158:159], v[2:3], v[158:159]
	v_fma_f64 v[180:181], v[89:90], s[42:43], v[160:161]
	v_mul_f64 v[182:183], v[117:118], s[10:11]
	v_add_f64 v[162:163], v[0:1], v[162:163]
	v_fma_f64 v[192:193], v[79:80], s[30:31], v[164:165]
	v_mul_f64 v[194:195], v[101:102], s[14:15]
	v_add_f64 v[156:157], v[170:171], v[156:157]
	v_add_f64 v[154:155], v[178:179], v[154:155]
	v_fma_f64 v[170:171], v[48:49], s[30:31], -v[186:187]
	v_add_f64 v[158:159], v[180:181], v[158:159]
	v_fma_f64 v[178:179], v[87:88], s[12:13], v[182:183]
	v_mul_f64 v[180:181], v[105:106], s[16:17]
	v_add_f64 v[162:163], v[192:193], v[162:163]
	v_fma_f64 v[186:187], v[48:49], s[10:11], v[194:195]
	v_mul_f64 v[192:193], v[97:98], s[22:23]
	v_fma_f64 v[172:173], v[85:86], s[18:19], v[172:173]
	v_add_f64 v[154:155], v[170:171], v[154:155]
	v_fma_f64 v[170:171], v[46:47], s[6:7], -v[184:185]
	v_add_f64 v[158:159], v[178:179], v[158:159]
	v_fma_f64 v[178:179], v[85:86], s[20:21], v[180:181]
	v_mul_f64 v[184:185], v[99:100], s[36:37]
	v_add_f64 v[162:163], v[186:187], v[162:163]
	v_fma_f64 v[186:187], v[46:47], s[16:17], v[192:193]
	v_add_f64 v[156:157], v[172:173], v[156:157]
	v_mul_f64 v[172:173], v[50:51], s[44:45]
	v_fma_f64 v[188:189], v[83:84], s[28:29], v[188:189]
	v_add_f64 v[123:124], v[2:3], v[123:124]
	v_add_f64 v[125:126], v[0:1], v[125:126]
	;; [unrolled: 1-line block ×3, first 2 shown]
	v_fma_f64 v[170:171], v[44:45], s[24:25], -v[190:191]
	v_add_f64 v[158:159], v[178:179], v[158:159]
	v_fma_f64 v[178:179], v[83:84], s[40:41], v[184:185]
	v_add_f64 v[162:163], v[186:187], v[162:163]
	v_mul_f64 v[186:187], v[93:94], s[6:7]
	v_fma_f64 v[190:191], v[44:45], s[36:37], v[172:173]
	v_add_f64 v[156:157], v[188:189], v[156:157]
	v_mul_f64 v[188:189], v[107:108], s[18:19]
	v_add_f64 v[115:116], v[123:124], v[115:116]
	v_add_f64 v[113:114], v[125:126], v[113:114]
	;; [unrolled: 1-line block ×3, first 2 shown]
	v_fma_f64 v[166:167], v[75:76], s[20:21], v[166:167]
	v_add_f64 v[158:159], v[178:179], v[158:159]
	v_fma_f64 v[170:171], v[75:76], s[26:27], v[186:187]
	v_add_f64 v[162:163], v[190:191], v[162:163]
	v_fma_f64 v[190:191], v[119:120], s[6:7], v[188:189]
	v_fma_f64 v[174:175], v[127:128], s[28:29], v[174:175]
	v_add_f64 v[111:112], v[115:116], v[111:112]
	v_add_f64 v[109:110], v[113:114], v[109:110]
	v_fma_f64 v[168:169], v[119:120], s[16:17], -v[168:169]
	v_mul_f64 v[178:179], v[133:134], s[6:7]
	v_add_f64 v[156:157], v[166:167], v[156:157]
	v_mul_f64 v[166:167], v[131:132], s[26:27]
	v_add_f64 v[133:134], v[170:171], v[158:159]
	v_fma_f64 v[158:159], v[129:130], s[24:25], -v[176:177]
	v_add_f64 v[131:132], v[190:191], v[162:163]
	v_add_f64 v[162:163], v[2:3], v[174:175]
	v_fma_f64 v[160:161], v[89:90], s[38:39], v[160:161]
	v_add_f64 v[95:96], v[111:112], v[95:96]
	v_add_f64 v[91:92], v[109:110], v[91:92]
	v_add_f64 v[154:155], v[168:169], v[154:155]
	v_fma_f64 v[168:169], v[127:128], s[18:19], v[178:179]
	v_fma_f64 v[127:128], v[127:128], s[26:27], v[178:179]
	;; [unrolled: 1-line block ×3, first 2 shown]
	v_fma_f64 v[129:130], v[129:130], s[6:7], -v[166:167]
	v_add_f64 v[158:159], v[0:1], v[158:159]
	v_fma_f64 v[164:165], v[79:80], s[30:31], -v[164:165]
	v_add_f64 v[160:161], v[160:161], v[162:163]
	v_fma_f64 v[162:163], v[87:88], s[14:15], v[182:183]
	v_mul_f64 v[121:122], v[121:122], s[24:25]
	v_add_f64 v[81:82], v[95:96], v[81:82]
	v_add_f64 v[77:78], v[91:92], v[77:78]
	;; [unrolled: 1-line block ×6, first 2 shown]
	v_fma_f64 v[158:159], v[48:49], s[10:11], -v[194:195]
	v_add_f64 v[123:124], v[162:163], v[160:161]
	v_fma_f64 v[125:126], v[85:86], s[22:23], v[180:181]
	v_add_f64 v[0:1], v[0:1], v[129:130]
	v_fma_f64 v[129:130], v[89:90], s[34:35], v[121:122]
	v_mul_f64 v[117:118], v[117:118], s[36:37]
	v_add_f64 v[73:74], v[81:82], v[73:74]
	v_add_f64 v[71:72], v[77:78], v[71:72]
	;; [unrolled: 1-line block ×3, first 2 shown]
	v_fma_f64 v[115:116], v[46:47], s[16:17], -v[192:193]
	v_add_f64 v[113:114], v[125:126], v[123:124]
	v_fma_f64 v[123:124], v[83:84], s[44:45], v[184:185]
	v_add_f64 v[125:126], v[129:130], v[166:167]
	v_fma_f64 v[129:130], v[87:88], s[44:45], v[117:118]
	v_mul_f64 v[103:104], v[103:104], s[28:29]
	v_mul_f64 v[105:106], v[105:106], s[30:31]
	v_add_f64 v[69:70], v[73:74], v[69:70]
	v_add_f64 v[67:68], v[71:72], v[67:68]
	;; [unrolled: 1-line block ×3, first 2 shown]
	v_fma_f64 v[109:110], v[44:45], s[36:37], -v[172:173]
	v_add_f64 v[113:114], v[123:124], v[113:114]
	v_add_f64 v[115:116], v[129:130], v[125:126]
	v_fma_f64 v[123:124], v[79:80], s[24:25], v[103:104]
	v_mul_f64 v[95:96], v[101:102], s[40:41]
	v_fma_f64 v[91:92], v[85:86], s[42:43], v[105:106]
	v_fma_f64 v[89:90], v[89:90], s[28:29], v[121:122]
	v_fma_f64 v[71:72], v[79:80], s[24:25], -v[103:104]
	v_add_f64 v[34:35], v[69:70], v[34:35]
	v_add_f64 v[32:33], v[67:68], v[32:33]
	;; [unrolled: 1-line block ×4, first 2 shown]
	v_fma_f64 v[81:82], v[48:49], s[36:37], v[95:96]
	v_add_f64 v[77:78], v[91:92], v[115:116]
	v_mul_f64 v[91:92], v[97:98], s[38:39]
	v_fma_f64 v[87:88], v[87:88], s[40:41], v[117:118]
	v_add_f64 v[2:3], v[89:90], v[2:3]
	v_fma_f64 v[48:49], v[48:49], s[36:37], -v[95:96]
	v_add_f64 v[0:1], v[71:72], v[0:1]
	v_add_f64 v[34:35], v[34:35], v[38:39]
	v_add_f64 v[32:33], v[32:33], v[36:37]
	v_mul_f64 v[99:100], v[99:100], s[16:17]
	v_add_f64 v[73:74], v[81:82], v[109:110]
	v_fma_f64 v[81:82], v[85:86], s[38:39], v[105:106]
	v_add_f64 v[2:3], v[87:88], v[2:3]
	v_mul_f64 v[50:51], v[50:51], s[20:21]
	v_fma_f64 v[38:39], v[46:47], s[30:31], -v[91:92]
	v_add_f64 v[0:1], v[48:49], v[0:1]
	v_fma_f64 v[79:80], v[46:47], s[30:31], v[91:92]
	v_add_f64 v[34:35], v[34:35], v[42:43]
	v_add_f64 v[32:33], v[32:33], v[40:41]
	v_fma_f64 v[69:70], v[83:84], s[20:21], v[99:100]
	v_mul_f64 v[71:72], v[93:94], s[10:11]
	v_add_f64 v[2:3], v[81:82], v[2:3]
	v_fma_f64 v[48:49], v[44:45], s[16:17], -v[50:51]
	v_mul_f64 v[42:43], v[107:108], s[14:15]
	v_add_f64 v[0:1], v[38:39], v[0:1]
	v_fma_f64 v[97:98], v[83:84], s[22:23], v[99:100]
	v_add_f64 v[67:68], v[79:80], v[73:74]
	v_fma_f64 v[40:41], v[44:45], s[16:17], v[50:51]
	v_add_f64 v[34:35], v[34:35], v[28:29]
	v_add_f64 v[30:31], v[32:33], v[30:31]
	v_fma_f64 v[38:39], v[75:76], s[14:15], v[71:72]
	v_add_f64 v[44:45], v[69:70], v[2:3]
	v_fma_f64 v[69:70], v[119:120], s[10:11], -v[42:43]
	v_add_f64 v[48:49], v[48:49], v[0:1]
	v_fma_f64 v[36:37], v[75:76], s[18:19], v[186:187]
	v_fma_f64 v[50:51], v[119:120], s[6:7], -v[188:189]
	v_add_f64 v[77:78], v[97:98], v[77:78]
	v_fma_f64 v[46:47], v[75:76], s[12:13], v[71:72]
	v_fma_f64 v[42:43], v[119:120], s[10:11], v[42:43]
	v_add_f64 v[40:41], v[40:41], v[67:68]
	v_add_f64 v[32:33], v[34:35], v[24:25]
	;; [unrolled: 1-line block ×7, first 2 shown]
	v_mov_b32_e32 v25, 4
	v_mul_u32_u24_e32 v24, 0x9c0, v63
	v_lshlrev_b32_sdwa v25, v25, v145 dst_sel:DWORD dst_unused:UNUSED_PAD src0_sel:DWORD src1_sel:BYTE_0
	v_add3_u32 v24, 0, v24, v25
	v_add_f64 v[36:37], v[46:47], v[77:78]
	v_add_f64 v[34:35], v[42:43], v[40:41]
	ds_write_b128 v24, v[30:33]
	ds_write_b128 v24, v[26:29] offset:192
	ds_write_b128 v24, v[0:3] offset:384
	;; [unrolled: 1-line block ×12, first 2 shown]
.LBB0_17:
	s_or_b64 exec, exec, s[4:5]
	v_mov_b32_e32 v63, 0
	v_lshlrev_b64 v[0:1], 4, v[62:63]
	v_mov_b32_e32 v2, s9
	v_add_co_u32_e32 v0, vcc, s8, v0
	v_addc_co_u32_e32 v1, vcc, v2, v1, vcc
	v_subrev_u32_e32 v11, 39, v52
	v_cmp_gt_u32_e32 vcc, 39, v52
	v_cndmask_b32_e32 v119, v11, v56, vcc
	v_lshlrev_b32_e32 v62, 1, v119
	v_lshlrev_b64 v[11:12], 4, v[62:63]
	s_waitcnt lgkmcnt(0)
	s_barrier
	global_load_dwordx4 v[3:6], v[0:1], off offset:2480
	global_load_dwordx4 v[7:10], v[0:1], off offset:2464
	v_add_co_u32_e32 v11, vcc, s8, v11
	v_addc_co_u32_e32 v12, vcc, v2, v12, vcc
	global_load_dwordx4 v[16:19], v[11:12], off offset:2480
	global_load_dwordx4 v[20:23], v[11:12], off offset:2464
	v_lshrrev_b16_e32 v11, 2, v61
	v_mul_u32_u24_e32 v11, 0xd21, v11
	v_lshrrev_b32_e32 v11, 17, v11
	v_mul_lo_u16_e32 v12, 0x9c, v11
	v_sub_u16_e32 v62, v61, v12
	v_lshlrev_b32_e32 v12, 5, v62
	global_load_dwordx4 v[24:27], v12, s[8:9] offset:2480
	global_load_dwordx4 v[28:31], v12, s[8:9] offset:2464
	v_lshrrev_b16_e32 v12, 2, v60
	v_mul_u32_u24_e32 v12, 0xd21, v12
	v_lshrrev_b32_e32 v12, 17, v12
	v_mul_lo_u16_e32 v12, 0x9c, v12
	v_sub_u16_e32 v120, v60, v12
	v_lshlrev_b32_e32 v12, 5, v120
	global_load_dwordx4 v[32:35], v12, s[8:9] offset:2464
	global_load_dwordx4 v[36:39], v12, s[8:9] offset:2480
	ds_read_b128 v[40:43], v135
	ds_read_b128 v[44:47], v135 offset:9360
	ds_read_b128 v[48:51], v135 offset:14976
	;; [unrolled: 1-line block ×3, first 2 shown]
	v_add_u32_e32 v12, v140, v144
	v_add_u32_e32 v15, v137, v143
	;; [unrolled: 1-line block ×4, first 2 shown]
	ds_read_b128 v[71:74], v135 offset:11232
	ds_read_b128 v[75:78], v135 offset:13104
	;; [unrolled: 1-line block ×4, first 2 shown]
	ds_read_b128 v[87:90], v12
	ds_read_b128 v[91:94], v15
	;; [unrolled: 1-line block ×4, first 2 shown]
	s_mov_b32 s4, 0xe8584caa
	s_mov_b32 s5, 0x3febb67a
	;; [unrolled: 1-line block ×4, first 2 shown]
	s_waitcnt vmcnt(0) lgkmcnt(0)
	s_barrier
	v_cmp_lt_u32_e32 vcc, 38, v52
	s_movk_i32 s10, 0x1d20
	s_movk_i32 s11, 0x1000
	v_mul_f64 v[105:106], v[50:51], v[5:6]
	v_mul_f64 v[103:104], v[89:90], v[9:10]
	;; [unrolled: 1-line block ×8, first 2 shown]
	v_fma_f64 v[87:88], v[87:88], v[7:8], -v[103:104]
	v_fma_f64 v[7:8], v[89:90], v[7:8], v[9:10]
	v_fma_f64 v[9:10], v[48:49], v[3:4], -v[105:106]
	v_mul_f64 v[113:114], v[81:82], v[26:27]
	v_mul_f64 v[111:112], v[73:74], v[30:31]
	;; [unrolled: 1-line block ×3, first 2 shown]
	v_fma_f64 v[5:6], v[50:51], v[3:4], v[5:6]
	v_mul_f64 v[30:31], v[71:72], v[30:31]
	v_fma_f64 v[3:4], v[44:45], v[20:21], -v[107:108]
	v_fma_f64 v[20:21], v[46:47], v[20:21], v[22:23]
	v_mul_f64 v[115:116], v[77:78], v[34:35]
	v_mul_f64 v[34:35], v[75:76], v[34:35]
	;; [unrolled: 1-line block ×4, first 2 shown]
	v_fma_f64 v[22:23], v[67:68], v[16:17], -v[109:110]
	v_fma_f64 v[44:45], v[69:70], v[16:17], v[18:19]
	v_fma_f64 v[46:47], v[71:72], v[28:29], -v[111:112]
	v_fma_f64 v[50:51], v[79:80], v[24:25], -v[113:114]
	v_fma_f64 v[67:68], v[81:82], v[24:25], v[26:27]
	v_add_f64 v[16:17], v[40:41], v[87:88]
	v_add_f64 v[18:19], v[87:88], v[9:10]
	v_add_f64 v[24:25], v[7:8], -v[5:6]
	v_add_f64 v[26:27], v[42:43], v[7:8]
	v_add_f64 v[7:8], v[7:8], v[5:6]
	v_fma_f64 v[48:49], v[73:74], v[28:29], v[30:31]
	v_fma_f64 v[69:70], v[75:76], v[32:33], -v[115:116]
	v_fma_f64 v[34:35], v[77:78], v[32:33], v[34:35]
	v_fma_f64 v[71:72], v[83:84], v[36:37], -v[117:118]
	v_fma_f64 v[73:74], v[85:86], v[36:37], v[38:39]
	v_add_f64 v[28:29], v[87:88], -v[9:10]
	v_add_f64 v[30:31], v[91:92], v[3:4]
	v_add_f64 v[32:33], v[3:4], v[22:23]
	v_add_f64 v[36:37], v[20:21], -v[44:45]
	v_add_f64 v[38:39], v[93:94], v[20:21]
	v_add_f64 v[20:21], v[20:21], v[44:45]
	v_add_f64 v[75:76], v[3:4], -v[22:23]
	v_add_f64 v[79:80], v[46:47], v[50:51]
	v_fma_f64 v[18:19], v[18:19], -0.5, v[40:41]
	v_add_f64 v[3:4], v[16:17], v[9:10]
	v_fma_f64 v[9:10], v[7:8], -0.5, v[42:43]
	v_add_f64 v[77:78], v[95:96], v[46:47]
	v_add_f64 v[81:82], v[48:49], -v[67:68]
	v_add_f64 v[5:6], v[26:27], v[5:6]
	v_fma_f64 v[26:27], v[32:33], -0.5, v[91:92]
	v_add_f64 v[7:8], v[30:31], v[22:23]
	v_fma_f64 v[30:31], v[20:21], -0.5, v[93:94]
	v_fma_f64 v[40:41], v[79:80], -0.5, v[95:96]
	v_fma_f64 v[16:17], v[24:25], s[4:5], v[18:19]
	v_fma_f64 v[20:21], v[24:25], s[6:7], v[18:19]
	;; [unrolled: 1-line block ×4, first 2 shown]
	v_add_f64 v[9:10], v[38:39], v[44:45]
	v_add_f64 v[38:39], v[48:49], v[67:68]
	;; [unrolled: 1-line block ×5, first 2 shown]
	v_fma_f64 v[24:25], v[36:37], s[4:5], v[26:27]
	v_fma_f64 v[28:29], v[36:37], s[6:7], v[26:27]
	;; [unrolled: 1-line block ×4, first 2 shown]
	v_add_f64 v[32:33], v[77:78], v[50:51]
	v_fma_f64 v[36:37], v[81:82], s[4:5], v[40:41]
	v_fma_f64 v[40:41], v[81:82], s[6:7], v[40:41]
	v_fma_f64 v[75:76], v[38:39], -0.5, v[97:98]
	v_add_f64 v[46:47], v[46:47], -v[50:51]
	v_add_f64 v[50:51], v[99:100], v[69:70]
	v_add_f64 v[81:82], v[101:102], v[34:35]
	v_fma_f64 v[77:78], v[42:43], -0.5, v[99:100]
	v_add_f64 v[79:80], v[34:35], -v[73:74]
	v_fma_f64 v[83:84], v[44:45], -0.5, v[101:102]
	v_add_f64 v[69:70], v[69:70], -v[71:72]
	v_add_f64 v[34:35], v[48:49], v[67:68]
	v_fma_f64 v[38:39], v[46:47], s[6:7], v[75:76]
	v_fma_f64 v[42:43], v[46:47], s[4:5], v[75:76]
	v_add_f64 v[44:45], v[50:51], v[71:72]
	v_add_f64 v[46:47], v[81:82], v[73:74]
	v_fma_f64 v[48:49], v[79:80], s[4:5], v[77:78]
	v_fma_f64 v[67:68], v[79:80], s[6:7], v[77:78]
	;; [unrolled: 1-line block ×4, first 2 shown]
	ds_write_b128 v135, v[3:6]
	ds_write_b128 v135, v[16:19] offset:2496
	ds_write_b128 v135, v[20:23] offset:4992
	v_mov_b32_e32 v3, 0x1d40
	v_cndmask_b32_e32 v3, 0, v3, vcc
	v_lshlrev_b32_e32 v4, 4, v119
	v_add3_u32 v3, 0, v3, v4
	ds_write_b128 v3, v[7:10]
	ds_write_b128 v3, v[24:27] offset:2496
	ds_write_b128 v3, v[28:31] offset:4992
	v_mul_u32_u24_e32 v3, 0x1d40, v11
	v_lshlrev_b32_e32 v4, 4, v62
	v_add_co_u32_e32 v16, vcc, s10, v0
	v_add3_u32 v3, 0, v3, v4
	v_addc_co_u32_e32 v17, vcc, 0, v1, vcc
	ds_write_b128 v3, v[32:35]
	ds_write_b128 v3, v[36:39] offset:2496
	ds_write_b128 v3, v[40:43] offset:4992
	v_lshl_add_u32 v3, v120, 4, 0
	v_add_co_u32_e32 v0, vcc, s11, v0
	ds_write_b128 v3, v[44:47] offset:14976
	ds_write_b128 v3, v[48:51] offset:17472
	;; [unrolled: 1-line block ×3, first 2 shown]
	v_addc_co_u32_e32 v1, vcc, 0, v1, vcc
	v_mov_b32_e32 v67, v63
	s_waitcnt lgkmcnt(0)
	s_barrier
	global_load_dwordx4 v[3:6], v[0:1], off offset:3360
	global_load_dwordx4 v[7:10], v[16:17], off offset:16
	v_lshlrev_b64 v[0:1], 4, v[66:67]
	v_mov_b32_e32 v66, v63
	v_add_co_u32_e32 v11, vcc, s8, v0
	v_addc_co_u32_e32 v16, vcc, v2, v1, vcc
	v_add_co_u32_e32 v0, vcc, s10, v11
	v_addc_co_u32_e32 v1, vcc, 0, v16, vcc
	;; [unrolled: 2-line block ×3, first 2 shown]
	global_load_dwordx4 v[16:19], v[24:25], off offset:3360
	global_load_dwordx4 v[20:23], v[0:1], off offset:16
	v_lshlrev_b64 v[0:1], 4, v[65:66]
	v_mov_b32_e32 v65, v63
	v_add_co_u32_e32 v11, vcc, s8, v0
	v_addc_co_u32_e32 v24, vcc, v2, v1, vcc
	v_add_co_u32_e32 v0, vcc, s10, v11
	v_addc_co_u32_e32 v1, vcc, 0, v24, vcc
	v_add_co_u32_e32 v32, vcc, s11, v11
	v_addc_co_u32_e32 v33, vcc, 0, v24, vcc
	global_load_dwordx4 v[24:27], v[32:33], off offset:3360
	global_load_dwordx4 v[28:31], v[0:1], off offset:16
	v_lshlrev_b64 v[0:1], 4, v[64:65]
	v_add_co_u32_e32 v11, vcc, s8, v0
	v_addc_co_u32_e32 v2, vcc, v2, v1, vcc
	v_add_co_u32_e32 v0, vcc, s11, v11
	v_addc_co_u32_e32 v1, vcc, 0, v2, vcc
	global_load_dwordx4 v[32:35], v[0:1], off offset:3360
	v_add_co_u32_e32 v0, vcc, s10, v11
	v_addc_co_u32_e32 v1, vcc, 0, v2, vcc
	global_load_dwordx4 v[36:39], v[0:1], off offset:16
	ds_read_b128 v[40:43], v12
	ds_read_b128 v[44:47], v15
	;; [unrolled: 1-line block ×3, first 2 shown]
	ds_read_b128 v[64:67], v135 offset:9360
	ds_read_b128 v[68:71], v135 offset:14976
	;; [unrolled: 1-line block ×3, first 2 shown]
	ds_read_b128 v[76:79], v14
	ds_read_b128 v[80:83], v13
	ds_read_b128 v[84:87], v135 offset:11232
	ds_read_b128 v[88:91], v135 offset:13104
	;; [unrolled: 1-line block ×4, first 2 shown]
	s_waitcnt vmcnt(0) lgkmcnt(0)
	s_barrier
	v_cmp_ne_u32_e32 vcc, 0, v52
	v_mul_f64 v[0:1], v[42:43], v[5:6]
	v_mul_f64 v[5:6], v[40:41], v[5:6]
	;; [unrolled: 1-line block ×4, first 2 shown]
	v_fma_f64 v[40:41], v[40:41], v[3:4], -v[0:1]
	v_fma_f64 v[0:1], v[42:43], v[3:4], v[5:6]
	v_fma_f64 v[4:5], v[68:69], v[7:8], -v[100:101]
	v_fma_f64 v[6:7], v[70:71], v[7:8], v[9:10]
	v_mul_f64 v[102:103], v[66:67], v[18:19]
	v_mul_f64 v[2:3], v[64:65], v[18:19]
	;; [unrolled: 1-line block ×4, first 2 shown]
	v_fma_f64 v[22:23], v[64:65], v[16:17], -v[102:103]
	v_fma_f64 v[16:17], v[66:67], v[16:17], v[2:3]
	v_fma_f64 v[42:43], v[74:75], v[20:21], v[8:9]
	v_fma_f64 v[18:19], v[72:73], v[20:21], -v[18:19]
	v_mul_f64 v[10:11], v[86:87], v[26:27]
	v_mul_f64 v[2:3], v[94:95], v[30:31]
	;; [unrolled: 1-line block ×4, first 2 shown]
	v_fma_f64 v[64:65], v[84:85], v[24:25], -v[10:11]
	v_fma_f64 v[66:67], v[86:87], v[24:25], v[26:27]
	v_add_f64 v[24:25], v[48:49], v[40:41]
	v_mul_f64 v[8:9], v[90:91], v[34:35]
	v_mul_f64 v[10:11], v[88:89], v[34:35]
	v_fma_f64 v[34:35], v[92:93], v[28:29], -v[2:3]
	v_add_f64 v[2:3], v[40:41], v[4:5]
	v_add_f64 v[26:27], v[0:1], -v[6:7]
	v_mul_f64 v[20:21], v[98:99], v[38:39]
	v_fma_f64 v[30:31], v[94:95], v[28:29], v[30:31]
	v_add_f64 v[28:29], v[40:41], -v[4:5]
	v_fma_f64 v[68:69], v[88:89], v[32:33], -v[8:9]
	v_mul_f64 v[8:9], v[96:97], v[38:39]
	v_fma_f64 v[38:39], v[90:91], v[32:33], v[10:11]
	v_add_f64 v[10:11], v[0:1], v[6:7]
	v_fma_f64 v[2:3], v[2:3], -0.5, v[48:49]
	v_fma_f64 v[48:49], v[96:97], v[36:37], -v[20:21]
	v_add_f64 v[20:21], v[50:51], v[0:1]
	v_add_f64 v[0:1], v[24:25], v[4:5]
	;; [unrolled: 1-line block ×3, first 2 shown]
	v_fma_f64 v[70:71], v[98:99], v[36:37], v[8:9]
	v_add_f64 v[36:37], v[64:65], v[34:35]
	v_fma_f64 v[10:11], v[10:11], -0.5, v[50:51]
	v_fma_f64 v[4:5], v[26:27], s[4:5], v[2:3]
	v_fma_f64 v[8:9], v[26:27], s[6:7], v[2:3]
	v_add_f64 v[2:3], v[20:21], v[6:7]
	v_add_f64 v[20:21], v[16:17], v[42:43]
	;; [unrolled: 1-line block ×3, first 2 shown]
	v_fma_f64 v[24:25], v[24:25], -0.5, v[44:45]
	v_add_f64 v[44:45], v[22:23], -v[18:19]
	v_fma_f64 v[6:7], v[28:29], s[6:7], v[10:11]
	v_fma_f64 v[10:11], v[28:29], s[4:5], v[10:11]
	v_add_f64 v[28:29], v[46:47], v[16:17]
	v_add_f64 v[32:33], v[16:17], -v[42:43]
	v_fma_f64 v[40:41], v[20:21], -0.5, v[46:47]
	v_add_f64 v[46:47], v[76:77], v[64:65]
	v_add_f64 v[16:17], v[26:27], v[18:19]
	v_fma_f64 v[36:37], v[36:37], -0.5, v[76:77]
	v_add_f64 v[50:51], v[66:67], -v[30:31]
	v_add_f64 v[72:73], v[38:39], -v[70:71]
	v_add_f64 v[18:19], v[28:29], v[42:43]
	v_add_f64 v[42:43], v[66:67], v[30:31]
	v_fma_f64 v[22:23], v[44:45], s[6:7], v[40:41]
	v_fma_f64 v[26:27], v[44:45], s[4:5], v[40:41]
	v_add_f64 v[40:41], v[68:69], v[48:49]
	v_add_f64 v[44:45], v[38:39], v[70:71]
	;; [unrolled: 1-line block ×4, first 2 shown]
	v_fma_f64 v[20:21], v[32:33], s[4:5], v[24:25]
	v_fma_f64 v[24:25], v[32:33], s[6:7], v[24:25]
	;; [unrolled: 1-line block ×4, first 2 shown]
	v_fma_f64 v[42:43], v[42:43], -0.5, v[78:79]
	v_add_f64 v[50:51], v[64:65], -v[34:35]
	v_add_f64 v[64:65], v[80:81], v[68:69]
	v_fma_f64 v[66:67], v[40:41], -0.5, v[80:81]
	v_add_f64 v[74:75], v[82:83], v[38:39]
	v_fma_f64 v[76:77], v[44:45], -0.5, v[82:83]
	v_add_f64 v[68:69], v[68:69], -v[48:49]
	v_add_f64 v[30:31], v[46:47], v[30:31]
	v_fma_f64 v[34:35], v[50:51], s[6:7], v[42:43]
	v_fma_f64 v[38:39], v[50:51], s[4:5], v[42:43]
	v_add_f64 v[40:41], v[64:65], v[48:49]
	v_fma_f64 v[44:45], v[72:73], s[4:5], v[66:67]
	v_fma_f64 v[48:49], v[72:73], s[6:7], v[66:67]
	;; [unrolled: 3-line block ×3, first 2 shown]
	ds_write_b128 v135, v[0:3]
	ds_write_b128 v135, v[4:7] offset:7488
	ds_write_b128 v135, v[8:11] offset:14976
	ds_write_b128 v15, v[16:19]
	ds_write_b128 v15, v[20:23] offset:7488
	ds_write_b128 v15, v[24:27] offset:14976
	;; [unrolled: 3-line block ×4, first 2 shown]
	s_waitcnt lgkmcnt(0)
	s_barrier
	ds_read_b128 v[4:7], v135
	s_add_u32 s6, s8, 0x57a0
	s_addc_u32 s7, s9, 0
	v_sub_u32_e32 v16, 0, v53
                                        ; implicit-def: $vgpr0_vgpr1
                                        ; implicit-def: $vgpr8_vgpr9
                                        ; implicit-def: $vgpr10_vgpr11
	s_and_saveexec_b64 s[4:5], vcc
	s_xor_b64 s[4:5], exec, s[4:5]
	s_cbranch_execz .LBB0_19
; %bb.18:
	v_mov_b32_e32 v53, v63
	v_lshlrev_b64 v[0:1], 4, v[52:53]
	v_mov_b32_e32 v2, s7
	v_add_co_u32_e32 v0, vcc, s6, v0
	v_addc_co_u32_e32 v1, vcc, v2, v1, vcc
	global_load_dwordx4 v[17:20], v[0:1], off
	ds_read_b128 v[0:3], v16 offset:22464
	s_waitcnt lgkmcnt(0)
	v_add_f64 v[8:9], v[4:5], -v[0:1]
	v_add_f64 v[10:11], v[6:7], v[2:3]
	v_add_f64 v[2:3], v[6:7], -v[2:3]
	v_add_f64 v[0:1], v[4:5], v[0:1]
	v_mul_f64 v[6:7], v[8:9], 0.5
	v_mul_f64 v[4:5], v[10:11], 0.5
	;; [unrolled: 1-line block ×3, first 2 shown]
	s_waitcnt vmcnt(0)
	v_mul_f64 v[8:9], v[6:7], v[19:20]
	v_fma_f64 v[10:11], v[4:5], v[19:20], v[2:3]
	v_fma_f64 v[2:3], v[4:5], v[19:20], -v[2:3]
	v_fma_f64 v[21:22], v[0:1], 0.5, v[8:9]
	v_fma_f64 v[0:1], v[0:1], 0.5, -v[8:9]
	v_fma_f64 v[10:11], -v[17:18], v[6:7], v[10:11]
	v_fma_f64 v[2:3], -v[17:18], v[6:7], v[2:3]
	v_fma_f64 v[8:9], v[4:5], v[17:18], v[21:22]
	v_fma_f64 v[0:1], -v[4:5], v[17:18], v[0:1]
                                        ; implicit-def: $vgpr4_vgpr5
.LBB0_19:
	s_or_saveexec_b64 s[4:5], s[4:5]
	v_sub_u32_e32 v17, 0, v57
	s_xor_b64 exec, exec, s[4:5]
	s_cbranch_execz .LBB0_21
; %bb.20:
	s_waitcnt lgkmcnt(0)
	v_add_f64 v[8:9], v[4:5], v[6:7]
	v_add_f64 v[0:1], v[4:5], -v[6:7]
	v_mov_b32_e32 v4, 0
	ds_read_b64 v[2:3], v4 offset:11240
	v_mov_b32_e32 v10, 0
	v_mov_b32_e32 v11, 0
	s_waitcnt lgkmcnt(0)
	v_xor_b32_e32 v3, 0x80000000, v3
	ds_write_b64 v4, v[2:3] offset:11240
	v_mov_b32_e32 v2, v10
	v_mov_b32_e32 v3, v11
.LBB0_21:
	s_or_b64 exec, exec, s[4:5]
	v_mov_b32_e32 v57, 0
	s_waitcnt lgkmcnt(0)
	v_lshlrev_b64 v[4:5], 4, v[56:57]
	v_mov_b32_e32 v6, s7
	v_add_co_u32_e32 v4, vcc, s6, v4
	v_addc_co_u32_e32 v5, vcc, v6, v5, vcc
	global_load_dwordx4 v[4:7], v[4:5], off
	v_mov_b32_e32 v62, v57
	v_lshlrev_b64 v[18:19], 4, v[61:62]
	v_mov_b32_e32 v20, s7
	v_add_co_u32_e32 v18, vcc, s6, v18
	v_addc_co_u32_e32 v19, vcc, v20, v19, vcc
	global_load_dwordx4 v[18:21], v[18:19], off
	ds_write2_b64 v135, v[8:9], v[10:11] offset1:1
	ds_write_b128 v16, v[0:3] offset:22464
	ds_read_b128 v[0:3], v15
	ds_read_b128 v[8:11], v16 offset:20592
	v_mov_b32_e32 v61, v57
	v_mov_b32_e32 v30, s7
	v_add_u32_e32 v17, v136, v17
	s_waitcnt lgkmcnt(0)
	v_add_f64 v[22:23], v[0:1], -v[8:9]
	v_add_f64 v[24:25], v[2:3], v[10:11]
	v_add_f64 v[2:3], v[2:3], -v[10:11]
	v_add_f64 v[0:1], v[0:1], v[8:9]
	v_mul_f64 v[10:11], v[22:23], 0.5
	v_mul_f64 v[22:23], v[24:25], 0.5
	;; [unrolled: 1-line block ×3, first 2 shown]
	v_lshlrev_b64 v[24:25], 4, v[60:61]
	v_mov_b32_e32 v60, v57
	s_waitcnt vmcnt(1)
	v_mul_f64 v[8:9], v[10:11], v[6:7]
	v_fma_f64 v[26:27], v[22:23], v[6:7], v[2:3]
	v_fma_f64 v[6:7], v[22:23], v[6:7], -v[2:3]
	v_fma_f64 v[28:29], v[0:1], 0.5, v[8:9]
	v_fma_f64 v[8:9], v[0:1], 0.5, -v[8:9]
	v_add_co_u32_e32 v0, vcc, s6, v24
	v_addc_co_u32_e32 v1, vcc, v30, v25, vcc
	global_load_dwordx4 v[0:3], v[0:1], off
	v_fma_f64 v[24:25], -v[4:5], v[10:11], v[26:27]
	v_fma_f64 v[6:7], -v[4:5], v[10:11], v[6:7]
	v_fma_f64 v[10:11], v[22:23], v[4:5], v[28:29]
	v_fma_f64 v[4:5], -v[22:23], v[4:5], v[8:9]
	ds_write_b64 v15, v[24:25] offset:8
	ds_write_b64 v16, v[6:7] offset:20600
	ds_write_b64 v15, v[10:11]
	ds_write_b64 v16, v[4:5] offset:20592
	ds_read_b128 v[4:7], v14
	ds_read_b128 v[8:11], v16 offset:18720
	v_mov_b32_e32 v15, s7
	s_waitcnt lgkmcnt(0)
	v_add_f64 v[22:23], v[4:5], -v[8:9]
	v_add_f64 v[24:25], v[6:7], v[10:11]
	v_add_f64 v[6:7], v[6:7], -v[10:11]
	v_add_f64 v[4:5], v[4:5], v[8:9]
	v_mul_f64 v[10:11], v[22:23], 0.5
	v_mul_f64 v[22:23], v[24:25], 0.5
	;; [unrolled: 1-line block ×3, first 2 shown]
	v_lshlrev_b64 v[24:25], 4, v[59:60]
	v_mov_b32_e32 v59, v57
	s_waitcnt vmcnt(1)
	v_mul_f64 v[8:9], v[10:11], v[20:21]
	v_fma_f64 v[26:27], v[22:23], v[20:21], v[6:7]
	v_fma_f64 v[20:21], v[22:23], v[20:21], -v[6:7]
	v_fma_f64 v[28:29], v[4:5], 0.5, v[8:9]
	v_fma_f64 v[8:9], v[4:5], 0.5, -v[8:9]
	v_add_co_u32_e32 v4, vcc, s6, v24
	v_addc_co_u32_e32 v5, vcc, v15, v25, vcc
	global_load_dwordx4 v[4:7], v[4:5], off
	v_fma_f64 v[24:25], -v[18:19], v[10:11], v[26:27]
	v_fma_f64 v[10:11], -v[18:19], v[10:11], v[20:21]
	v_fma_f64 v[20:21], v[22:23], v[18:19], v[28:29]
	v_fma_f64 v[8:9], -v[22:23], v[18:19], v[8:9]
	ds_write_b64 v14, v[24:25] offset:8
	ds_write_b64 v16, v[10:11] offset:18728
	ds_write_b64 v14, v[20:21]
	ds_write_b64 v16, v[8:9] offset:18720
	ds_read_b128 v[8:11], v13
	ds_read_b128 v[18:21], v16 offset:16848
	v_mov_b32_e32 v28, s7
	s_waitcnt lgkmcnt(0)
	v_add_f64 v[14:15], v[8:9], -v[18:19]
	v_add_f64 v[22:23], v[10:11], v[20:21]
	v_add_f64 v[10:11], v[10:11], -v[20:21]
	v_add_f64 v[8:9], v[8:9], v[18:19]
	v_mul_f64 v[14:15], v[14:15], 0.5
	v_mul_f64 v[20:21], v[22:23], 0.5
	;; [unrolled: 1-line block ×3, first 2 shown]
	v_lshlrev_b64 v[22:23], 4, v[58:59]
	s_waitcnt vmcnt(1)
	v_mul_f64 v[18:19], v[14:15], v[2:3]
	v_fma_f64 v[24:25], v[20:21], v[2:3], v[10:11]
	v_fma_f64 v[2:3], v[20:21], v[2:3], -v[10:11]
	v_fma_f64 v[26:27], v[8:9], 0.5, v[18:19]
	v_fma_f64 v[18:19], v[8:9], 0.5, -v[18:19]
	v_add_co_u32_e32 v8, vcc, s6, v22
	v_addc_co_u32_e32 v9, vcc, v28, v23, vcc
	global_load_dwordx4 v[8:11], v[8:9], off
	v_fma_f64 v[22:23], -v[0:1], v[14:15], v[24:25]
	v_fma_f64 v[2:3], -v[0:1], v[14:15], v[2:3]
	v_fma_f64 v[14:15], v[20:21], v[0:1], v[26:27]
	v_fma_f64 v[0:1], -v[20:21], v[0:1], v[18:19]
	ds_write_b64 v13, v[22:23] offset:8
	ds_write_b64 v16, v[2:3] offset:16856
	ds_write_b64 v13, v[14:15]
	ds_write_b64 v16, v[0:1] offset:16848
	ds_read_b128 v[0:3], v12
	ds_read_b128 v[18:21], v16 offset:14976
	s_waitcnt lgkmcnt(0)
	v_add_f64 v[13:14], v[0:1], -v[18:19]
	v_add_f64 v[22:23], v[2:3], v[20:21]
	v_add_f64 v[2:3], v[2:3], -v[20:21]
	v_add_f64 v[0:1], v[0:1], v[18:19]
	v_mul_f64 v[13:14], v[13:14], 0.5
	v_mul_f64 v[20:21], v[22:23], 0.5
	;; [unrolled: 1-line block ×3, first 2 shown]
	s_waitcnt vmcnt(1)
	v_mul_f64 v[18:19], v[13:14], v[6:7]
	v_fma_f64 v[22:23], v[20:21], v[6:7], v[2:3]
	v_fma_f64 v[2:3], v[20:21], v[6:7], -v[2:3]
	v_fma_f64 v[6:7], v[0:1], 0.5, v[18:19]
	v_fma_f64 v[0:1], v[0:1], 0.5, -v[18:19]
	v_fma_f64 v[18:19], -v[4:5], v[13:14], v[22:23]
	v_fma_f64 v[2:3], -v[4:5], v[13:14], v[2:3]
	v_fma_f64 v[6:7], v[20:21], v[4:5], v[6:7]
	v_fma_f64 v[0:1], -v[20:21], v[4:5], v[0:1]
	ds_write_b64 v12, v[18:19] offset:8
	ds_write_b64 v16, v[2:3] offset:14984
	ds_write_b64 v12, v[6:7]
	ds_write_b64 v16, v[0:1] offset:14976
	ds_read_b128 v[0:3], v17
	ds_read_b128 v[4:7], v16 offset:13104
	s_waitcnt lgkmcnt(0)
	v_add_f64 v[12:13], v[0:1], -v[4:5]
	v_add_f64 v[14:15], v[2:3], v[6:7]
	v_add_f64 v[2:3], v[2:3], -v[6:7]
	v_add_f64 v[0:1], v[0:1], v[4:5]
	v_mul_f64 v[6:7], v[12:13], 0.5
	v_mul_f64 v[12:13], v[14:15], 0.5
	;; [unrolled: 1-line block ×3, first 2 shown]
	s_waitcnt vmcnt(0)
	v_mul_f64 v[4:5], v[6:7], v[10:11]
	v_fma_f64 v[14:15], v[12:13], v[10:11], v[2:3]
	v_fma_f64 v[2:3], v[12:13], v[10:11], -v[2:3]
	v_fma_f64 v[10:11], v[0:1], 0.5, v[4:5]
	v_fma_f64 v[0:1], v[0:1], 0.5, -v[4:5]
	v_fma_f64 v[4:5], -v[8:9], v[6:7], v[14:15]
	v_fma_f64 v[2:3], -v[8:9], v[6:7], v[2:3]
	v_fma_f64 v[6:7], v[12:13], v[8:9], v[10:11]
	v_fma_f64 v[0:1], -v[12:13], v[8:9], v[0:1]
	ds_write_b64 v17, v[4:5] offset:8
	ds_write_b64 v16, v[2:3] offset:13112
	ds_write_b64 v17, v[6:7]
	ds_write_b64 v16, v[0:1] offset:13104
	s_waitcnt lgkmcnt(0)
	s_barrier
	s_and_saveexec_b64 s[4:5], s[0:1]
	s_cbranch_execz .LBB0_24
; %bb.22:
	v_mov_b32_e32 v53, v57
	v_mov_b32_e32 v0, s3
	v_add_co_u32_e32 v1, vcc, s2, v54
	v_lshlrev_b64 v[14:15], 4, v[52:53]
	ds_read_b128 v[2:5], v135
	ds_read_b128 v[6:9], v135 offset:1872
	ds_read_b128 v[10:13], v135 offset:3744
	v_addc_co_u32_e32 v0, vcc, v0, v55, vcc
	v_add_co_u32_e32 v14, vcc, v1, v14
	v_addc_co_u32_e32 v15, vcc, v0, v15, vcc
	s_waitcnt lgkmcnt(2)
	global_store_dwordx4 v[14:15], v[2:5], off
	s_waitcnt lgkmcnt(1)
	global_store_dwordx4 v[14:15], v[6:9], off offset:1872
	ds_read_b128 v[2:5], v135 offset:5616
	ds_read_b128 v[6:9], v135 offset:7488
	s_movk_i32 s0, 0x1000
	s_waitcnt lgkmcnt(2)
	global_store_dwordx4 v[14:15], v[10:13], off offset:3744
	s_nop 0
	v_add_co_u32_e32 v10, vcc, s0, v14
	v_addc_co_u32_e32 v11, vcc, 0, v15, vcc
	s_waitcnt lgkmcnt(1)
	global_store_dwordx4 v[10:11], v[2:5], off offset:1520
	ds_read_b128 v[2:5], v135 offset:9360
	s_waitcnt lgkmcnt(1)
	global_store_dwordx4 v[10:11], v[6:9], off offset:3392
	ds_read_b128 v[6:9], v135 offset:11232
	s_movk_i32 s0, 0x2000
	v_add_co_u32_e32 v10, vcc, s0, v14
	v_addc_co_u32_e32 v11, vcc, 0, v15, vcc
	s_waitcnt lgkmcnt(1)
	global_store_dwordx4 v[10:11], v[2:5], off offset:1168
	ds_read_b128 v[2:5], v135 offset:13104
	s_waitcnt lgkmcnt(1)
	global_store_dwordx4 v[10:11], v[6:9], off offset:3040
	ds_read_b128 v[6:9], v135 offset:14976
	s_movk_i32 s0, 0x3000
	v_add_co_u32_e32 v10, vcc, s0, v14
	v_addc_co_u32_e32 v11, vcc, 0, v15, vcc
	s_waitcnt lgkmcnt(1)
	global_store_dwordx4 v[10:11], v[2:5], off offset:816
	ds_read_b128 v[2:5], v135 offset:16848
	s_waitcnt lgkmcnt(1)
	global_store_dwordx4 v[10:11], v[6:9], off offset:2688
	ds_read_b128 v[6:9], v135 offset:18720
	v_add_co_u32_e32 v10, vcc, 0x4000, v14
	v_addc_co_u32_e32 v11, vcc, 0, v15, vcc
	s_waitcnt lgkmcnt(1)
	global_store_dwordx4 v[10:11], v[2:5], off offset:464
	ds_read_b128 v[2:5], v135 offset:20592
	s_waitcnt lgkmcnt(1)
	global_store_dwordx4 v[10:11], v[6:9], off offset:2336
	s_movk_i32 s0, 0x74
	v_add_co_u32_e32 v6, vcc, 0x5000, v14
	v_addc_co_u32_e32 v7, vcc, 0, v15, vcc
	v_cmp_eq_u32_e32 vcc, s0, v52
	s_waitcnt lgkmcnt(0)
	global_store_dwordx4 v[6:7], v[2:5], off offset:112
	s_and_b64 exec, exec, vcc
	s_cbranch_execz .LBB0_24
; %bb.23:
	v_mov_b32_e32 v2, 0
	ds_read_b128 v[2:5], v2 offset:22464
	v_add_co_u32_e32 v6, vcc, 0x5000, v1
	v_addc_co_u32_e32 v7, vcc, 0, v0, vcc
	s_waitcnt lgkmcnt(0)
	global_store_dwordx4 v[6:7], v[2:5], off offset:1984
.LBB0_24:
	s_endpgm
	.section	.rodata,"a",@progbits
	.p2align	6, 0x0
	.amdhsa_kernel fft_rtc_fwd_len1404_factors_2_2_3_13_3_3_wgs_117_tpt_117_halfLds_dp_ip_CI_unitstride_sbrr_R2C_dirReg
		.amdhsa_group_segment_fixed_size 0
		.amdhsa_private_segment_fixed_size 0
		.amdhsa_kernarg_size 88
		.amdhsa_user_sgpr_count 6
		.amdhsa_user_sgpr_private_segment_buffer 1
		.amdhsa_user_sgpr_dispatch_ptr 0
		.amdhsa_user_sgpr_queue_ptr 0
		.amdhsa_user_sgpr_kernarg_segment_ptr 1
		.amdhsa_user_sgpr_dispatch_id 0
		.amdhsa_user_sgpr_flat_scratch_init 0
		.amdhsa_user_sgpr_private_segment_size 0
		.amdhsa_uses_dynamic_stack 0
		.amdhsa_system_sgpr_private_segment_wavefront_offset 0
		.amdhsa_system_sgpr_workgroup_id_x 1
		.amdhsa_system_sgpr_workgroup_id_y 0
		.amdhsa_system_sgpr_workgroup_id_z 0
		.amdhsa_system_sgpr_workgroup_info 0
		.amdhsa_system_vgpr_workitem_id 0
		.amdhsa_next_free_vgpr 196
		.amdhsa_next_free_sgpr 46
		.amdhsa_reserve_vcc 1
		.amdhsa_reserve_flat_scratch 0
		.amdhsa_float_round_mode_32 0
		.amdhsa_float_round_mode_16_64 0
		.amdhsa_float_denorm_mode_32 3
		.amdhsa_float_denorm_mode_16_64 3
		.amdhsa_dx10_clamp 1
		.amdhsa_ieee_mode 1
		.amdhsa_fp16_overflow 0
		.amdhsa_exception_fp_ieee_invalid_op 0
		.amdhsa_exception_fp_denorm_src 0
		.amdhsa_exception_fp_ieee_div_zero 0
		.amdhsa_exception_fp_ieee_overflow 0
		.amdhsa_exception_fp_ieee_underflow 0
		.amdhsa_exception_fp_ieee_inexact 0
		.amdhsa_exception_int_div_zero 0
	.end_amdhsa_kernel
	.text
.Lfunc_end0:
	.size	fft_rtc_fwd_len1404_factors_2_2_3_13_3_3_wgs_117_tpt_117_halfLds_dp_ip_CI_unitstride_sbrr_R2C_dirReg, .Lfunc_end0-fft_rtc_fwd_len1404_factors_2_2_3_13_3_3_wgs_117_tpt_117_halfLds_dp_ip_CI_unitstride_sbrr_R2C_dirReg
                                        ; -- End function
	.section	.AMDGPU.csdata,"",@progbits
; Kernel info:
; codeLenInByte = 12572
; NumSgprs: 50
; NumVgprs: 196
; ScratchSize: 0
; MemoryBound: 0
; FloatMode: 240
; IeeeMode: 1
; LDSByteSize: 0 bytes/workgroup (compile time only)
; SGPRBlocks: 6
; VGPRBlocks: 48
; NumSGPRsForWavesPerEU: 50
; NumVGPRsForWavesPerEU: 196
; Occupancy: 1
; WaveLimiterHint : 1
; COMPUTE_PGM_RSRC2:SCRATCH_EN: 0
; COMPUTE_PGM_RSRC2:USER_SGPR: 6
; COMPUTE_PGM_RSRC2:TRAP_HANDLER: 0
; COMPUTE_PGM_RSRC2:TGID_X_EN: 1
; COMPUTE_PGM_RSRC2:TGID_Y_EN: 0
; COMPUTE_PGM_RSRC2:TGID_Z_EN: 0
; COMPUTE_PGM_RSRC2:TIDIG_COMP_CNT: 0
	.type	__hip_cuid_19ac3fbb3c31f349,@object ; @__hip_cuid_19ac3fbb3c31f349
	.section	.bss,"aw",@nobits
	.globl	__hip_cuid_19ac3fbb3c31f349
__hip_cuid_19ac3fbb3c31f349:
	.byte	0                               ; 0x0
	.size	__hip_cuid_19ac3fbb3c31f349, 1

	.ident	"AMD clang version 19.0.0git (https://github.com/RadeonOpenCompute/llvm-project roc-6.4.0 25133 c7fe45cf4b819c5991fe208aaa96edf142730f1d)"
	.section	".note.GNU-stack","",@progbits
	.addrsig
	.addrsig_sym __hip_cuid_19ac3fbb3c31f349
	.amdgpu_metadata
---
amdhsa.kernels:
  - .args:
      - .actual_access:  read_only
        .address_space:  global
        .offset:         0
        .size:           8
        .value_kind:     global_buffer
      - .offset:         8
        .size:           8
        .value_kind:     by_value
      - .actual_access:  read_only
        .address_space:  global
        .offset:         16
        .size:           8
        .value_kind:     global_buffer
      - .actual_access:  read_only
        .address_space:  global
        .offset:         24
        .size:           8
        .value_kind:     global_buffer
      - .offset:         32
        .size:           8
        .value_kind:     by_value
      - .actual_access:  read_only
        .address_space:  global
        .offset:         40
        .size:           8
        .value_kind:     global_buffer
      - .actual_access:  read_only
        .address_space:  global
        .offset:         48
        .size:           8
        .value_kind:     global_buffer
      - .offset:         56
        .size:           4
        .value_kind:     by_value
      - .actual_access:  read_only
        .address_space:  global
        .offset:         64
        .size:           8
        .value_kind:     global_buffer
      - .actual_access:  read_only
        .address_space:  global
        .offset:         72
        .size:           8
        .value_kind:     global_buffer
      - .address_space:  global
        .offset:         80
        .size:           8
        .value_kind:     global_buffer
    .group_segment_fixed_size: 0
    .kernarg_segment_align: 8
    .kernarg_segment_size: 88
    .language:       OpenCL C
    .language_version:
      - 2
      - 0
    .max_flat_workgroup_size: 117
    .name:           fft_rtc_fwd_len1404_factors_2_2_3_13_3_3_wgs_117_tpt_117_halfLds_dp_ip_CI_unitstride_sbrr_R2C_dirReg
    .private_segment_fixed_size: 0
    .sgpr_count:     50
    .sgpr_spill_count: 0
    .symbol:         fft_rtc_fwd_len1404_factors_2_2_3_13_3_3_wgs_117_tpt_117_halfLds_dp_ip_CI_unitstride_sbrr_R2C_dirReg.kd
    .uniform_work_group_size: 1
    .uses_dynamic_stack: false
    .vgpr_count:     196
    .vgpr_spill_count: 0
    .wavefront_size: 64
amdhsa.target:   amdgcn-amd-amdhsa--gfx906
amdhsa.version:
  - 1
  - 2
...

	.end_amdgpu_metadata
